;; amdgpu-corpus repo=pytorch/pytorch kind=compiled arch=gfx950 opt=O3
	.amdgcn_target "amdgcn-amd-amdhsa--gfx950"
	.amdhsa_code_object_version 6
	.section	.text._ZN7rocprim17ROCPRIM_304000_NS6detail28radix_sort_block_sort_kernelINS1_36wrapped_radix_sort_block_sort_configINS0_13kernel_configILj256ELj4ELj4294967295EEEiN2at4cuda3cub6detail10OpaqueTypeILi2EEEEELb1EPKiPiPKSB_PSB_NS0_19identity_decomposerEEEvT1_T2_T3_T4_jT5_jj,"axG",@progbits,_ZN7rocprim17ROCPRIM_304000_NS6detail28radix_sort_block_sort_kernelINS1_36wrapped_radix_sort_block_sort_configINS0_13kernel_configILj256ELj4ELj4294967295EEEiN2at4cuda3cub6detail10OpaqueTypeILi2EEEEELb1EPKiPiPKSB_PSB_NS0_19identity_decomposerEEEvT1_T2_T3_T4_jT5_jj,comdat
	.protected	_ZN7rocprim17ROCPRIM_304000_NS6detail28radix_sort_block_sort_kernelINS1_36wrapped_radix_sort_block_sort_configINS0_13kernel_configILj256ELj4ELj4294967295EEEiN2at4cuda3cub6detail10OpaqueTypeILi2EEEEELb1EPKiPiPKSB_PSB_NS0_19identity_decomposerEEEvT1_T2_T3_T4_jT5_jj ; -- Begin function _ZN7rocprim17ROCPRIM_304000_NS6detail28radix_sort_block_sort_kernelINS1_36wrapped_radix_sort_block_sort_configINS0_13kernel_configILj256ELj4ELj4294967295EEEiN2at4cuda3cub6detail10OpaqueTypeILi2EEEEELb1EPKiPiPKSB_PSB_NS0_19identity_decomposerEEEvT1_T2_T3_T4_jT5_jj
	.globl	_ZN7rocprim17ROCPRIM_304000_NS6detail28radix_sort_block_sort_kernelINS1_36wrapped_radix_sort_block_sort_configINS0_13kernel_configILj256ELj4ELj4294967295EEEiN2at4cuda3cub6detail10OpaqueTypeILi2EEEEELb1EPKiPiPKSB_PSB_NS0_19identity_decomposerEEEvT1_T2_T3_T4_jT5_jj
	.p2align	8
	.type	_ZN7rocprim17ROCPRIM_304000_NS6detail28radix_sort_block_sort_kernelINS1_36wrapped_radix_sort_block_sort_configINS0_13kernel_configILj256ELj4ELj4294967295EEEiN2at4cuda3cub6detail10OpaqueTypeILi2EEEEELb1EPKiPiPKSB_PSB_NS0_19identity_decomposerEEEvT1_T2_T3_T4_jT5_jj,@function
_ZN7rocprim17ROCPRIM_304000_NS6detail28radix_sort_block_sort_kernelINS1_36wrapped_radix_sort_block_sort_configINS0_13kernel_configILj256ELj4ELj4294967295EEEiN2at4cuda3cub6detail10OpaqueTypeILi2EEEEELb1EPKiPiPKSB_PSB_NS0_19identity_decomposerEEEvT1_T2_T3_T4_jT5_jj: ; @_ZN7rocprim17ROCPRIM_304000_NS6detail28radix_sort_block_sort_kernelINS1_36wrapped_radix_sort_block_sort_configINS0_13kernel_configILj256ELj4ELj4294967295EEEiN2at4cuda3cub6detail10OpaqueTypeILi2EEEEELb1EPKiPiPKSB_PSB_NS0_19identity_decomposerEEEvT1_T2_T3_T4_jT5_jj
; %bb.0:
	s_load_dword s4, s[0:1], 0x20
	s_load_dwordx8 s[36:43], s[0:1], 0x0
	s_lshl_b32 s28, s2, 10
	s_mov_b32 s29, 0
	v_and_b32_e32 v6, 0x3ff, v0
	s_waitcnt lgkmcnt(0)
	s_lshr_b32 s3, s4, 10
	s_cmp_lg_u32 s2, s3
	s_cselect_b64 s[30:31], -1, 0
	s_lshl_b64 s[34:35], s[28:29], 2
	v_mbcnt_lo_u32_b32 v1, -1, 0
	s_add_u32 s6, s36, s34
	v_mbcnt_hi_u32_b32 v1, -1, v1
	v_lshlrev_b32_e32 v8, 2, v6
	s_addc_u32 s7, s37, s35
	v_and_b32_e32 v9, 0x300, v8
	v_mov_b32_e32 v11, 0
	v_lshlrev_b32_e32 v10, 2, v1
	v_lshl_add_u64 v[2:3], s[6:7], 0, v[10:11]
	v_lshlrev_b32_e32 v10, 2, v9
	s_cmp_eq_u32 s2, s3
	v_lshl_add_u64 v[14:15], v[2:3], 0, v[10:11]
	v_lshlrev_b32_e32 v10, 1, v1
	v_lshlrev_b32_e32 v12, 1, v9
	v_add_u32_e32 v7, v1, v9
	s_cbranch_scc1 .LBB0_2
; %bb.1:
	s_lshl_b64 s[2:3], s[28:29], 1
	s_add_u32 s2, s40, s2
	s_addc_u32 s3, s41, s3
	v_lshl_add_u64 v[16:17], s[2:3], 0, v[10:11]
	v_mov_b32_e32 v13, v11
	v_lshl_add_u64 v[16:17], v[16:17], 0, v[12:13]
	global_load_dword v2, v[14:15], off
	global_load_dword v3, v[14:15], off offset:256
	global_load_dword v4, v[14:15], off offset:512
	;; [unrolled: 1-line block ×3, first 2 shown]
	global_load_ushort v41, v[16:17], off
	global_load_ushort v42, v[16:17], off offset:128
	global_load_ushort v43, v[16:17], off offset:256
	;; [unrolled: 1-line block ×3, first 2 shown]
	v_add_u32_e32 v11, v1, v9
	v_add_u32_e32 v22, 64, v11
	v_add_u32_e32 v23, 0x80, v11
	v_add_u32_e32 v24, 0xc0, v11
	s_sub_i32 s33, s4, s28
	s_cbranch_execz .LBB0_3
	s_branch .LBB0_17
.LBB0_2:
                                        ; implicit-def: $vgpr2_vgpr3_vgpr4_vgpr5
                                        ; implicit-def: $vgpr41
                                        ; implicit-def: $vgpr42
                                        ; implicit-def: $vgpr43
                                        ; implicit-def: $vgpr44
                                        ; implicit-def: $vgpr11
                                        ; implicit-def: $vgpr22
                                        ; implicit-def: $vgpr23
                                        ; implicit-def: $vgpr24
	s_sub_i32 s33, s4, s28
.LBB0_3:
	s_waitcnt vmcnt(7)
	v_bfrev_b32_e32 v2, 1
	v_cmp_gt_u32_e32 vcc, s33, v7
	s_waitcnt vmcnt(6)
	v_mov_b32_e32 v3, v2
	s_waitcnt vmcnt(5)
	v_mov_b32_e32 v4, v2
	;; [unrolled: 2-line block ×3, first 2 shown]
	s_and_saveexec_b64 s[2:3], vcc
	s_cbranch_execz .LBB0_5
; %bb.4:
	global_load_dword v16, v[14:15], off
	v_mov_b32_e32 v17, v2
	v_mov_b32_e32 v18, v2
	v_mov_b32_e32 v19, v2
	s_waitcnt vmcnt(0)
	v_mov_b64_e32 v[2:3], v[16:17]
	v_mov_b64_e32 v[4:5], v[18:19]
.LBB0_5:
	s_or_b64 exec, exec, s[2:3]
	v_add_u32_e32 v22, 64, v7
	v_cmp_gt_u32_e64 s[2:3], s33, v22
	s_and_saveexec_b64 s[4:5], s[2:3]
	s_cbranch_execz .LBB0_7
; %bb.6:
	global_load_dword v3, v[14:15], off offset:256
.LBB0_7:
	s_or_b64 exec, exec, s[4:5]
	v_add_u32_e32 v23, 0x80, v7
	v_cmp_gt_u32_e64 s[4:5], s33, v23
	s_and_saveexec_b64 s[6:7], s[4:5]
	s_cbranch_execz .LBB0_9
; %bb.8:
	global_load_dword v4, v[14:15], off offset:512
.LBB0_9:
	s_or_b64 exec, exec, s[6:7]
	v_add_u32_e32 v24, 0xc0, v7
	v_cmp_gt_u32_e64 s[6:7], s33, v24
	s_and_saveexec_b64 s[8:9], s[6:7]
	s_cbranch_execz .LBB0_11
; %bb.10:
	global_load_dword v5, v[14:15], off offset:768
.LBB0_11:
	s_or_b64 exec, exec, s[8:9]
	s_lshl_b64 s[8:9], s[28:29], 1
	s_add_u32 s8, s40, s8
	s_addc_u32 s9, s41, s9
	v_mov_b32_e32 v11, 0
	v_lshl_add_u64 v[14:15], s[8:9], 0, v[10:11]
	v_mov_b32_e32 v13, v11
	v_lshl_add_u64 v[10:11], v[14:15], 0, v[12:13]
                                        ; implicit-def: $vgpr41
	s_and_saveexec_b64 s[8:9], vcc
	s_cbranch_execnz .LBB0_54
; %bb.12:
	s_or_b64 exec, exec, s[8:9]
                                        ; implicit-def: $vgpr42
	s_and_saveexec_b64 s[8:9], s[2:3]
	s_cbranch_execnz .LBB0_55
.LBB0_13:
	s_or_b64 exec, exec, s[8:9]
                                        ; implicit-def: $vgpr43
	s_and_saveexec_b64 s[2:3], s[4:5]
	s_cbranch_execnz .LBB0_56
.LBB0_14:
	s_or_b64 exec, exec, s[2:3]
                                        ; implicit-def: $vgpr44
	s_and_saveexec_b64 s[2:3], s[6:7]
	s_cbranch_execz .LBB0_16
.LBB0_15:
	global_load_ushort v44, v[10:11], off offset:384
.LBB0_16:
	s_or_b64 exec, exec, s[2:3]
	v_mov_b32_e32 v11, v7
.LBB0_17:
	s_load_dwordx2 s[36:37], s[0:1], 0x28
	s_waitcnt vmcnt(0)
	v_xor_b32_e32 v12, 0x7fffffff, v4
	s_load_dword s0, s[0:1], 0x3c
	v_bfe_u32 v4, v0, 10, 10
	v_bfe_u32 v0, v0, 20, 10
	v_xor_b32_e32 v34, 0x7fffffff, v5
	s_mov_b32 s26, 0
	s_waitcnt lgkmcnt(0)
	s_lshr_b32 s1, s0, 16
	s_and_b32 s0, s0, 0xffff
	v_mad_u32_u24 v0, v0, s1, v4
	v_mad_u64_u32 v[4:5], s[0:1], v0, s0, v[6:7]
	v_lshrrev_b32_e32 v0, 4, v4
	v_and_b32_e32 v9, 0xffffffc, v0
	v_and_b32_e32 v0, 15, v1
	v_cmp_eq_u32_e64 s[0:1], 0, v0
	v_cmp_lt_u32_e64 s[2:3], 1, v0
	v_cmp_lt_u32_e64 s[4:5], 3, v0
	;; [unrolled: 1-line block ×3, first 2 shown]
	v_and_b32_e32 v0, 16, v1
	v_cmp_eq_u32_e64 s[8:9], 0, v0
	v_and_b32_e32 v0, 0x3c0, v6
	v_min_u32_e32 v0, 0xc0, v0
	v_or_b32_e32 v0, 63, v0
	v_cmp_eq_u32_e64 s[12:13], v6, v0
	v_subrev_co_u32_e64 v0, s[18:19], 1, v1
	v_and_b32_e32 v4, 64, v1
	v_cmp_lt_i32_e32 vcc, v0, v4
	v_lshlrev_b32_e32 v4, 1, v23
	v_cmp_lt_u32_e64 s[10:11], 31, v1
	v_cndmask_b32_e32 v0, v0, v1, vcc
	v_lshlrev_b32_e32 v15, 2, v0
	v_lshrrev_b32_e32 v0, 4, v6
	v_and_b32_e32 v16, 60, v0
	v_and_b32_e32 v0, 3, v1
	v_cmp_eq_u32_e64 s[22:23], 0, v0
	v_cmp_lt_u32_e64 s[24:25], 1, v0
	v_lshlrev_b32_e32 v19, 2, v22
	v_lshlrev_b32_e32 v0, 1, v11
	;; [unrolled: 1-line block ×3, first 2 shown]
	v_sub_u32_e32 v22, 0, v4
	v_lshlrev_b32_e32 v4, 1, v24
	v_lshlrev_b32_e32 v18, 2, v11
	;; [unrolled: 1-line block ×4, first 2 shown]
	v_sub_u32_e32 v0, 0, v0
	v_sub_u32_e32 v1, 0, v1
	v_sub_u32_e32 v23, 0, v4
	s_mov_b32 s27, s26
	s_mov_b32 s44, s26
	;; [unrolled: 1-line block ×3, first 2 shown]
	v_xor_b32_e32 v2, 0x7fffffff, v2
	v_xor_b32_e32 v3, 0x7fffffff, v3
	s_add_i32 s40, s37, s36
	v_lshlrev_b32_e32 v7, 2, v8
	v_cmp_gt_u32_e64 s[14:15], 4, v6
	v_cmp_lt_u32_e64 s[16:17], 63, v6
	v_cmp_eq_u32_e64 s[20:21], 0, v6
	v_mul_i32_i24_e32 v14, -12, v6
	v_add_u32_e32 v17, -4, v16
	v_mov_b64_e32 v[4:5], s[26:27]
	v_mov_b64_e32 v[10:11], s[44:45]
	v_mov_b32_e32 v13, 0
	v_add_u32_e32 v25, v18, v0
	v_add_u32_e32 v26, v19, v1
	;; [unrolled: 1-line block ×4, first 2 shown]
	s_branch .LBB0_19
.LBB0_18:                               ;   in Loop: Header=BB0_19 Depth=1
	s_andn2_b64 vcc, exec, s[26:27]
	s_mov_b32 s37, s41
	s_cbranch_vccz .LBB0_35
.LBB0_19:                               ; =>This Inner Loop Header: Depth=1
	v_mov_b32_e32 v33, v2
	s_min_u32 s26, s37, 8
	s_lshl_b32 s41, -1, s26
	v_lshrrev_b32_e32 v0, s36, v33
	v_bitop3_b32 v2, v0, s41, v0 bitop3:0x30
	v_mov_b32_e32 v31, v12
	v_and_b32_e32 v12, 1, v2
	v_lshl_add_u64 v[0:1], v[12:13], 0, -1
	v_cmp_ne_u32_e32 vcc, 0, v12
	v_mov_b32_e32 v30, v34
	v_mov_b32_e32 v32, v3
	v_xor_b32_e32 v1, vcc_hi, v1
	v_xor_b32_e32 v0, vcc_lo, v0
	v_and_b32_e32 v12, exec_hi, v1
	v_and_b32_e32 v34, exec_lo, v0
	v_lshlrev_b32_e32 v1, 30, v2
	v_mov_b32_e32 v0, v13
	v_cmp_gt_i64_e32 vcc, 0, v[0:1]
	v_not_b32_e32 v0, v1
	v_ashrrev_i32_e32 v0, 31, v0
	v_xor_b32_e32 v1, vcc_hi, v0
	v_xor_b32_e32 v0, vcc_lo, v0
	v_and_b32_e32 v12, v12, v1
	v_and_b32_e32 v34, v34, v0
	v_lshlrev_b32_e32 v1, 29, v2
	v_mov_b32_e32 v0, v13
	v_cmp_gt_i64_e32 vcc, 0, v[0:1]
	v_not_b32_e32 v0, v1
	v_ashrrev_i32_e32 v0, 31, v0
	v_xor_b32_e32 v1, vcc_hi, v0
	v_xor_b32_e32 v0, vcc_lo, v0
	v_and_b32_e32 v12, v12, v1
	v_and_b32_e32 v34, v34, v0
	;; [unrolled: 9-line block ×6, first 2 shown]
	v_lshlrev_b32_e32 v1, 24, v2
	v_mov_b32_e32 v0, v13
	v_cmp_gt_i64_e32 vcc, 0, v[0:1]
	v_not_b32_e32 v0, v1
	v_ashrrev_i32_e32 v0, 31, v0
	v_xor_b32_e32 v1, vcc_hi, v0
	v_xor_b32_e32 v0, vcc_lo, v0
	v_and_b32_e32 v0, v34, v0
	v_lshlrev_b32_e32 v3, 4, v2
	v_and_b32_e32 v1, v12, v1
	v_mbcnt_lo_u32_b32 v2, v0, 0
	v_mbcnt_hi_u32_b32 v34, v1, v2
	v_cmp_eq_u32_e32 vcc, 0, v34
	v_cmp_ne_u64_e64 s[26:27], 0, v[0:1]
	v_mov_b32_e32 v27, v41
	v_mov_b32_e32 v24, v42
	;; [unrolled: 1-line block ×4, first 2 shown]
	s_and_b64 s[44:45], s[26:27], vcc
	v_add_u32_e32 v35, v9, v3
	ds_write2_b64 v7, v[4:5], v[10:11] offset0:2 offset1:3
	s_waitcnt lgkmcnt(0)
	s_barrier
	; wave barrier
	s_and_saveexec_b64 s[26:27], s[44:45]
; %bb.20:                               ;   in Loop: Header=BB0_19 Depth=1
	v_bcnt_u32_b32 v0, v0, 0
	v_bcnt_u32_b32 v0, v1, v0
	ds_write_b32 v35, v0 offset:16
; %bb.21:                               ;   in Loop: Header=BB0_19 Depth=1
	s_or_b64 exec, exec, s[26:27]
	s_not_b32 s41, s41
	v_lshrrev_b32_e32 v0, s36, v32
	v_and_b32_e32 v2, s41, v0
	v_lshlrev_b32_e32 v0, 4, v2
	v_and_b32_e32 v12, 1, v2
	v_add_u32_e32 v37, v9, v0
	v_lshl_add_u64 v[0:1], v[12:13], 0, -1
	v_cmp_ne_u32_e32 vcc, 0, v12
	; wave barrier
	s_nop 1
	v_xor_b32_e32 v1, vcc_hi, v1
	v_xor_b32_e32 v0, vcc_lo, v0
	v_and_b32_e32 v3, exec_hi, v1
	v_and_b32_e32 v12, exec_lo, v0
	v_lshlrev_b32_e32 v1, 30, v2
	v_mov_b32_e32 v0, v13
	v_cmp_gt_i64_e32 vcc, 0, v[0:1]
	v_not_b32_e32 v0, v1
	v_ashrrev_i32_e32 v0, 31, v0
	v_xor_b32_e32 v1, vcc_hi, v0
	v_xor_b32_e32 v0, vcc_lo, v0
	v_and_b32_e32 v3, v3, v1
	v_and_b32_e32 v12, v12, v0
	v_lshlrev_b32_e32 v1, 29, v2
	v_mov_b32_e32 v0, v13
	v_cmp_gt_i64_e32 vcc, 0, v[0:1]
	v_not_b32_e32 v0, v1
	v_ashrrev_i32_e32 v0, 31, v0
	v_xor_b32_e32 v1, vcc_hi, v0
	v_xor_b32_e32 v0, vcc_lo, v0
	v_and_b32_e32 v3, v3, v1
	v_and_b32_e32 v12, v12, v0
	;; [unrolled: 9-line block ×6, first 2 shown]
	v_lshlrev_b32_e32 v1, 24, v2
	v_mov_b32_e32 v0, v13
	v_cmp_gt_i64_e32 vcc, 0, v[0:1]
	v_not_b32_e32 v0, v1
	v_ashrrev_i32_e32 v0, 31, v0
	v_xor_b32_e32 v1, vcc_hi, v0
	v_xor_b32_e32 v0, vcc_lo, v0
	ds_read_b32 v36, v37 offset:16
	v_and_b32_e32 v0, v12, v0
	v_and_b32_e32 v1, v3, v1
	v_mbcnt_lo_u32_b32 v2, v0, 0
	v_mbcnt_hi_u32_b32 v38, v1, v2
	v_cmp_eq_u32_e32 vcc, 0, v38
	v_cmp_ne_u64_e64 s[26:27], 0, v[0:1]
	s_and_b64 s[44:45], s[26:27], vcc
	; wave barrier
	s_and_saveexec_b64 s[26:27], s[44:45]
	s_cbranch_execz .LBB0_23
; %bb.22:                               ;   in Loop: Header=BB0_19 Depth=1
	v_bcnt_u32_b32 v0, v0, 0
	v_bcnt_u32_b32 v0, v1, v0
	s_waitcnt lgkmcnt(0)
	v_add_u32_e32 v0, v36, v0
	ds_write_b32 v37, v0 offset:16
.LBB0_23:                               ;   in Loop: Header=BB0_19 Depth=1
	s_or_b64 exec, exec, s[26:27]
	v_lshrrev_b32_e32 v0, s36, v31
	v_and_b32_e32 v2, s41, v0
	v_lshlrev_b32_e32 v0, 4, v2
	v_and_b32_e32 v12, 1, v2
	v_add_u32_e32 v40, v9, v0
	v_lshl_add_u64 v[0:1], v[12:13], 0, -1
	v_cmp_ne_u32_e32 vcc, 0, v12
	; wave barrier
	s_nop 1
	v_xor_b32_e32 v1, vcc_hi, v1
	v_xor_b32_e32 v0, vcc_lo, v0
	v_and_b32_e32 v3, exec_hi, v1
	v_and_b32_e32 v12, exec_lo, v0
	v_lshlrev_b32_e32 v1, 30, v2
	v_mov_b32_e32 v0, v13
	v_cmp_gt_i64_e32 vcc, 0, v[0:1]
	v_not_b32_e32 v0, v1
	v_ashrrev_i32_e32 v0, 31, v0
	v_xor_b32_e32 v1, vcc_hi, v0
	v_xor_b32_e32 v0, vcc_lo, v0
	v_and_b32_e32 v3, v3, v1
	v_and_b32_e32 v12, v12, v0
	v_lshlrev_b32_e32 v1, 29, v2
	v_mov_b32_e32 v0, v13
	v_cmp_gt_i64_e32 vcc, 0, v[0:1]
	v_not_b32_e32 v0, v1
	v_ashrrev_i32_e32 v0, 31, v0
	v_xor_b32_e32 v1, vcc_hi, v0
	v_xor_b32_e32 v0, vcc_lo, v0
	v_and_b32_e32 v3, v3, v1
	v_and_b32_e32 v12, v12, v0
	;; [unrolled: 9-line block ×6, first 2 shown]
	v_lshlrev_b32_e32 v1, 24, v2
	v_mov_b32_e32 v0, v13
	v_cmp_gt_i64_e32 vcc, 0, v[0:1]
	v_not_b32_e32 v0, v1
	v_ashrrev_i32_e32 v0, 31, v0
	v_xor_b32_e32 v1, vcc_hi, v0
	v_xor_b32_e32 v0, vcc_lo, v0
	ds_read_b32 v39, v40 offset:16
	v_and_b32_e32 v0, v12, v0
	v_and_b32_e32 v1, v3, v1
	v_mbcnt_lo_u32_b32 v2, v0, 0
	v_mbcnt_hi_u32_b32 v41, v1, v2
	v_cmp_eq_u32_e32 vcc, 0, v41
	v_cmp_ne_u64_e64 s[26:27], 0, v[0:1]
	s_and_b64 s[44:45], s[26:27], vcc
	; wave barrier
	s_and_saveexec_b64 s[26:27], s[44:45]
	s_cbranch_execz .LBB0_25
; %bb.24:                               ;   in Loop: Header=BB0_19 Depth=1
	v_bcnt_u32_b32 v0, v0, 0
	v_bcnt_u32_b32 v0, v1, v0
	s_waitcnt lgkmcnt(0)
	v_add_u32_e32 v0, v39, v0
	ds_write_b32 v40, v0 offset:16
.LBB0_25:                               ;   in Loop: Header=BB0_19 Depth=1
	s_or_b64 exec, exec, s[26:27]
	v_lshrrev_b32_e32 v0, s36, v30
	v_and_b32_e32 v2, s41, v0
	v_lshlrev_b32_e32 v0, 4, v2
	v_and_b32_e32 v12, 1, v2
	v_add_u32_e32 v43, v9, v0
	v_lshl_add_u64 v[0:1], v[12:13], 0, -1
	v_cmp_ne_u32_e32 vcc, 0, v12
	; wave barrier
	s_nop 1
	v_xor_b32_e32 v1, vcc_hi, v1
	v_xor_b32_e32 v0, vcc_lo, v0
	v_and_b32_e32 v3, exec_hi, v1
	v_and_b32_e32 v12, exec_lo, v0
	v_lshlrev_b32_e32 v1, 30, v2
	v_mov_b32_e32 v0, v13
	v_cmp_gt_i64_e32 vcc, 0, v[0:1]
	v_not_b32_e32 v0, v1
	v_ashrrev_i32_e32 v0, 31, v0
	v_xor_b32_e32 v1, vcc_hi, v0
	v_xor_b32_e32 v0, vcc_lo, v0
	v_and_b32_e32 v3, v3, v1
	v_and_b32_e32 v12, v12, v0
	v_lshlrev_b32_e32 v1, 29, v2
	v_mov_b32_e32 v0, v13
	v_cmp_gt_i64_e32 vcc, 0, v[0:1]
	v_not_b32_e32 v0, v1
	v_ashrrev_i32_e32 v0, 31, v0
	v_xor_b32_e32 v1, vcc_hi, v0
	v_xor_b32_e32 v0, vcc_lo, v0
	v_and_b32_e32 v3, v3, v1
	v_and_b32_e32 v12, v12, v0
	;; [unrolled: 9-line block ×6, first 2 shown]
	v_lshlrev_b32_e32 v1, 24, v2
	v_mov_b32_e32 v0, v13
	v_cmp_gt_i64_e32 vcc, 0, v[0:1]
	v_not_b32_e32 v0, v1
	v_ashrrev_i32_e32 v0, 31, v0
	v_xor_b32_e32 v1, vcc_hi, v0
	v_xor_b32_e32 v0, vcc_lo, v0
	ds_read_b32 v42, v43 offset:16
	v_and_b32_e32 v0, v12, v0
	v_and_b32_e32 v1, v3, v1
	v_mbcnt_lo_u32_b32 v2, v0, 0
	v_mbcnt_hi_u32_b32 v12, v1, v2
	v_cmp_eq_u32_e32 vcc, 0, v12
	v_cmp_ne_u64_e64 s[26:27], 0, v[0:1]
	s_and_b64 s[44:45], s[26:27], vcc
	; wave barrier
	s_and_saveexec_b64 s[26:27], s[44:45]
	s_cbranch_execz .LBB0_27
; %bb.26:                               ;   in Loop: Header=BB0_19 Depth=1
	v_bcnt_u32_b32 v0, v0, 0
	v_bcnt_u32_b32 v0, v1, v0
	s_waitcnt lgkmcnt(0)
	v_add_u32_e32 v0, v42, v0
	ds_write_b32 v43, v0 offset:16
.LBB0_27:                               ;   in Loop: Header=BB0_19 Depth=1
	s_or_b64 exec, exec, s[26:27]
	; wave barrier
	s_waitcnt lgkmcnt(0)
	s_barrier
	ds_read2_b64 v[0:3], v7 offset0:2 offset1:3
	s_waitcnt lgkmcnt(0)
	v_add_u32_e32 v44, v1, v0
	v_add3_u32 v3, v44, v2, v3
	s_nop 1
	v_mov_b32_dpp v44, v3 row_shr:1 row_mask:0xf bank_mask:0xf
	v_cndmask_b32_e64 v44, v44, 0, s[0:1]
	v_add_u32_e32 v3, v44, v3
	s_nop 1
	v_mov_b32_dpp v44, v3 row_shr:2 row_mask:0xf bank_mask:0xf
	v_cndmask_b32_e64 v44, 0, v44, s[2:3]
	v_add_u32_e32 v3, v3, v44
	;; [unrolled: 4-line block ×4, first 2 shown]
	s_nop 1
	v_mov_b32_dpp v44, v3 row_bcast:15 row_mask:0xf bank_mask:0xf
	v_cndmask_b32_e64 v44, v44, 0, s[8:9]
	v_add_u32_e32 v3, v3, v44
	s_nop 1
	v_mov_b32_dpp v44, v3 row_bcast:31 row_mask:0xf bank_mask:0xf
	v_cndmask_b32_e64 v44, 0, v44, s[10:11]
	v_add_u32_e32 v3, v3, v44
	s_and_saveexec_b64 s[26:27], s[12:13]
; %bb.28:                               ;   in Loop: Header=BB0_19 Depth=1
	ds_write_b32 v16, v3
; %bb.29:                               ;   in Loop: Header=BB0_19 Depth=1
	s_or_b64 exec, exec, s[26:27]
	s_waitcnt lgkmcnt(0)
	s_barrier
	s_and_saveexec_b64 s[26:27], s[14:15]
	s_cbranch_execz .LBB0_31
; %bb.30:                               ;   in Loop: Header=BB0_19 Depth=1
	v_add_u32_e32 v44, v7, v14
	ds_read_b32 v45, v44
	s_waitcnt lgkmcnt(0)
	s_nop 0
	v_mov_b32_dpp v46, v45 row_shr:1 row_mask:0xf bank_mask:0xf
	v_cndmask_b32_e64 v46, v46, 0, s[22:23]
	v_add_u32_e32 v45, v46, v45
	s_nop 1
	v_mov_b32_dpp v46, v45 row_shr:2 row_mask:0xf bank_mask:0xf
	v_cndmask_b32_e64 v46, 0, v46, s[24:25]
	v_add_u32_e32 v45, v45, v46
	ds_write_b32 v44, v45
.LBB0_31:                               ;   in Loop: Header=BB0_19 Depth=1
	s_or_b64 exec, exec, s[26:27]
	v_mov_b32_e32 v44, 0
	s_waitcnt lgkmcnt(0)
	s_barrier
	s_and_saveexec_b64 s[26:27], s[16:17]
; %bb.32:                               ;   in Loop: Header=BB0_19 Depth=1
	ds_read_b32 v44, v17
; %bb.33:                               ;   in Loop: Header=BB0_19 Depth=1
	s_or_b64 exec, exec, s[26:27]
	s_waitcnt lgkmcnt(0)
	v_add_u32_e32 v3, v44, v3
	ds_bpermute_b32 v3, v15, v3
	s_add_i32 s36, s36, 8
	s_cmp_ge_u32 s36, s40
	s_mov_b64 s[26:27], -1
	s_waitcnt lgkmcnt(0)
	v_cndmask_b32_e64 v3, v3, v44, s[18:19]
	v_cndmask_b32_e64 v44, v3, 0, s[20:21]
	v_add_u32_e32 v45, v44, v0
	v_add_u32_e32 v0, v45, v1
	;; [unrolled: 1-line block ×3, first 2 shown]
	ds_write2_b64 v7, v[44:45], v[0:1] offset0:2 offset1:3
	s_waitcnt lgkmcnt(0)
	s_barrier
	ds_read_b32 v0, v35 offset:16
	ds_read_b32 v1, v37 offset:16
	;; [unrolled: 1-line block ×4, first 2 shown]
	s_waitcnt lgkmcnt(0)
	v_add_u32_e32 v37, v0, v34
	v_add3_u32 v35, v38, v36, v1
	v_add3_u32 v1, v41, v39, v2
	;; [unrolled: 1-line block ×3, first 2 shown]
	v_lshlrev_b32_e32 v40, 2, v37
	v_lshlrev_b32_e32 v39, 2, v35
	;; [unrolled: 1-line block ×4, first 2 shown]
	v_readfirstlane_b32 s41, v0
                                        ; implicit-def: $vgpr34
                                        ; implicit-def: $vgpr12
                                        ; implicit-def: $vgpr3
                                        ; implicit-def: $vgpr2
                                        ; implicit-def: $vgpr41
                                        ; implicit-def: $vgpr42
                                        ; implicit-def: $vgpr43
                                        ; implicit-def: $vgpr44
	s_cbranch_scc1 .LBB0_18
; %bb.34:                               ;   in Loop: Header=BB0_19 Depth=1
	v_lshlrev_b32_e32 v41, 1, v37
	v_sub_u32_e32 v41, v40, v41
	s_barrier
	ds_write_b32 v40, v33
	ds_write_b32 v39, v32
	;; [unrolled: 1-line block ×4, first 2 shown]
	s_waitcnt lgkmcnt(0)
	s_barrier
	ds_read_b32 v2, v18
	ds_read_b32 v3, v19
	;; [unrolled: 1-line block ×4, first 2 shown]
	s_waitcnt lgkmcnt(0)
	s_barrier
	ds_write_b16 v41, v27
	v_lshlrev_b32_e32 v41, 1, v35
	v_sub_u32_e32 v41, v39, v41
	ds_write_b16 v41, v24
	v_lshlrev_b32_e32 v41, 1, v1
	v_sub_u32_e32 v41, v38, v41
	;; [unrolled: 3-line block ×3, first 2 shown]
	ds_write_b16 v41, v22
	s_waitcnt lgkmcnt(0)
	s_barrier
	ds_read_u16 v41, v25
	ds_read_u16 v42, v26
	;; [unrolled: 1-line block ×4, first 2 shown]
	s_add_i32 s41, s37, -8
	s_mov_b64 s[26:27], 0
	s_waitcnt lgkmcnt(0)
	s_barrier
	s_branch .LBB0_18
.LBB0_35:
	v_add_u32_e32 v4, v7, v14
	s_barrier
	ds_write_b32 v40, v33
	ds_write_b32 v39, v32
	;; [unrolled: 1-line block ×4, first 2 shown]
	s_waitcnt lgkmcnt(0)
	s_barrier
	ds_read2st64_b32 v[2:3], v4 offset1:4
	ds_read2st64_b32 v[14:15], v4 offset0:8 offset1:12
	v_lshlrev_b32_e32 v4, 1, v37
	v_sub_u32_e32 v4, v40, v4
	s_waitcnt lgkmcnt(0)
	s_barrier
	ds_write_b16 v4, v27
	v_lshlrev_b32_e32 v4, 1, v35
	v_lshlrev_b32_e32 v1, 1, v1
	;; [unrolled: 1-line block ×3, first 2 shown]
	v_sub_u32_e32 v4, v39, v4
	v_sub_u32_e32 v1, v38, v1
	;; [unrolled: 1-line block ×3, first 2 shown]
	ds_write_b16 v4, v24
	ds_write_b16 v1, v23
	;; [unrolled: 1-line block ×3, first 2 shown]
	v_lshlrev_b32_e32 v0, 1, v6
	s_waitcnt lgkmcnt(0)
	s_barrier
	ds_read_u16 v10, v0
	ds_read_u16 v7, v0 offset:512
	ds_read_u16 v5, v0 offset:1024
	;; [unrolled: 1-line block ×3, first 2 shown]
	s_add_u32 s0, s38, s34
	s_addc_u32 s1, s39, s35
	v_mov_b32_e32 v9, 0
	v_xor_b32_e32 v13, 0x7fffffff, v2
	v_xor_b32_e32 v12, 0x7fffffff, v3
	;; [unrolled: 1-line block ×4, first 2 shown]
	s_andn2_b64 vcc, exec, s[30:31]
	v_lshl_add_u64 v[2:3], s[0:1], 0, v[8:9]
	s_cbranch_vccnz .LBB0_37
; %bb.36:
	s_lshl_b64 s[0:1], s[28:29], 1
	s_add_u32 s0, s42, s0
	s_addc_u32 s1, s43, s1
	global_store_dword v[2:3], v13, off
	global_store_dword v[2:3], v12, off offset:1024
	global_store_dword v[2:3], v11, off offset:2048
	;; [unrolled: 1-line block ×3, first 2 shown]
	s_waitcnt lgkmcnt(3)
	global_store_short v0, v10, s[0:1]
	s_waitcnt lgkmcnt(2)
	global_store_short v0, v7, s[0:1] offset:512
	s_waitcnt lgkmcnt(1)
	global_store_short v0, v5, s[0:1] offset:1024
	s_mov_b64 s[4:5], -1
	s_cbranch_execz .LBB0_38
	s_branch .LBB0_51
.LBB0_37:
	s_mov_b64 s[4:5], 0
.LBB0_38:
	v_cmp_gt_u32_e32 vcc, s33, v6
	s_and_saveexec_b64 s[0:1], vcc
	s_cbranch_execz .LBB0_40
; %bb.39:
	global_store_dword v[2:3], v13, off
.LBB0_40:
	s_or_b64 exec, exec, s[0:1]
	v_add_u32_e32 v8, 0x100, v6
	v_cmp_gt_u32_e64 s[0:1], s33, v8
	s_and_saveexec_b64 s[2:3], s[0:1]
	s_cbranch_execz .LBB0_42
; %bb.41:
	global_store_dword v[2:3], v12, off offset:1024
.LBB0_42:
	s_or_b64 exec, exec, s[2:3]
	v_add_u32_e32 v8, 0x200, v6
	v_cmp_gt_u32_e64 s[2:3], s33, v8
	s_and_saveexec_b64 s[4:5], s[2:3]
	s_cbranch_execz .LBB0_44
; %bb.43:
	global_store_dword v[2:3], v11, off offset:2048
.LBB0_44:
	;; [unrolled: 8-line block ×3, first 2 shown]
	s_or_b64 exec, exec, s[6:7]
	s_lshl_b64 s[6:7], s[28:29], 1
	s_add_u32 s6, s42, s6
	s_addc_u32 s7, s43, s7
	v_mov_b32_e32 v1, 0
	v_lshl_add_u64 v[2:3], s[6:7], 0, v[0:1]
	s_and_saveexec_b64 s[6:7], vcc
	s_cbranch_execnz .LBB0_57
; %bb.47:
	s_or_b64 exec, exec, s[6:7]
	s_and_saveexec_b64 s[6:7], s[0:1]
	s_cbranch_execnz .LBB0_58
.LBB0_48:
	s_or_b64 exec, exec, s[6:7]
	s_and_saveexec_b64 s[0:1], s[2:3]
	s_cbranch_execz .LBB0_50
.LBB0_49:
	s_waitcnt lgkmcnt(1)
	global_store_short v[2:3], v5, off offset:1024
.LBB0_50:
	s_or_b64 exec, exec, s[0:1]
.LBB0_51:
	s_and_saveexec_b64 s[0:1], s[4:5]
	s_cbranch_execnz .LBB0_53
; %bb.52:
	s_endpgm
.LBB0_53:
	s_lshl_b64 s[0:1], s[28:29], 1
	s_add_u32 s0, s42, s0
	s_addc_u32 s1, s43, s1
	s_waitcnt lgkmcnt(0)
	global_store_short v0, v4, s[0:1] offset:1536
	s_endpgm
.LBB0_54:
	global_load_ushort v41, v[10:11], off
	s_or_b64 exec, exec, s[8:9]
                                        ; implicit-def: $vgpr42
	s_and_saveexec_b64 s[8:9], s[2:3]
	s_cbranch_execz .LBB0_13
.LBB0_55:
	global_load_ushort v42, v[10:11], off offset:128
	s_or_b64 exec, exec, s[8:9]
                                        ; implicit-def: $vgpr43
	s_and_saveexec_b64 s[2:3], s[4:5]
	s_cbranch_execz .LBB0_14
.LBB0_56:
	global_load_ushort v43, v[10:11], off offset:256
	s_or_b64 exec, exec, s[2:3]
                                        ; implicit-def: $vgpr44
	s_and_saveexec_b64 s[2:3], s[6:7]
	s_cbranch_execnz .LBB0_15
	s_branch .LBB0_16
.LBB0_57:
	s_waitcnt lgkmcnt(3)
	global_store_short v[2:3], v10, off
	s_or_b64 exec, exec, s[6:7]
	s_and_saveexec_b64 s[6:7], s[0:1]
	s_cbranch_execz .LBB0_48
.LBB0_58:
	s_waitcnt lgkmcnt(2)
	global_store_short v[2:3], v7, off offset:512
	s_or_b64 exec, exec, s[6:7]
	s_and_saveexec_b64 s[0:1], s[2:3]
	s_cbranch_execnz .LBB0_49
	s_branch .LBB0_50
	.section	.rodata,"a",@progbits
	.p2align	6, 0x0
	.amdhsa_kernel _ZN7rocprim17ROCPRIM_304000_NS6detail28radix_sort_block_sort_kernelINS1_36wrapped_radix_sort_block_sort_configINS0_13kernel_configILj256ELj4ELj4294967295EEEiN2at4cuda3cub6detail10OpaqueTypeILi2EEEEELb1EPKiPiPKSB_PSB_NS0_19identity_decomposerEEEvT1_T2_T3_T4_jT5_jj
		.amdhsa_group_segment_fixed_size 4112
		.amdhsa_private_segment_fixed_size 0
		.amdhsa_kernarg_size 304
		.amdhsa_user_sgpr_count 2
		.amdhsa_user_sgpr_dispatch_ptr 0
		.amdhsa_user_sgpr_queue_ptr 0
		.amdhsa_user_sgpr_kernarg_segment_ptr 1
		.amdhsa_user_sgpr_dispatch_id 0
		.amdhsa_user_sgpr_kernarg_preload_length 0
		.amdhsa_user_sgpr_kernarg_preload_offset 0
		.amdhsa_user_sgpr_private_segment_size 0
		.amdhsa_uses_dynamic_stack 0
		.amdhsa_enable_private_segment 0
		.amdhsa_system_sgpr_workgroup_id_x 1
		.amdhsa_system_sgpr_workgroup_id_y 0
		.amdhsa_system_sgpr_workgroup_id_z 0
		.amdhsa_system_sgpr_workgroup_info 0
		.amdhsa_system_vgpr_workitem_id 2
		.amdhsa_next_free_vgpr 47
		.amdhsa_next_free_sgpr 46
		.amdhsa_accum_offset 48
		.amdhsa_reserve_vcc 1
		.amdhsa_float_round_mode_32 0
		.amdhsa_float_round_mode_16_64 0
		.amdhsa_float_denorm_mode_32 3
		.amdhsa_float_denorm_mode_16_64 3
		.amdhsa_dx10_clamp 1
		.amdhsa_ieee_mode 1
		.amdhsa_fp16_overflow 0
		.amdhsa_tg_split 0
		.amdhsa_exception_fp_ieee_invalid_op 0
		.amdhsa_exception_fp_denorm_src 0
		.amdhsa_exception_fp_ieee_div_zero 0
		.amdhsa_exception_fp_ieee_overflow 0
		.amdhsa_exception_fp_ieee_underflow 0
		.amdhsa_exception_fp_ieee_inexact 0
		.amdhsa_exception_int_div_zero 0
	.end_amdhsa_kernel
	.section	.text._ZN7rocprim17ROCPRIM_304000_NS6detail28radix_sort_block_sort_kernelINS1_36wrapped_radix_sort_block_sort_configINS0_13kernel_configILj256ELj4ELj4294967295EEEiN2at4cuda3cub6detail10OpaqueTypeILi2EEEEELb1EPKiPiPKSB_PSB_NS0_19identity_decomposerEEEvT1_T2_T3_T4_jT5_jj,"axG",@progbits,_ZN7rocprim17ROCPRIM_304000_NS6detail28radix_sort_block_sort_kernelINS1_36wrapped_radix_sort_block_sort_configINS0_13kernel_configILj256ELj4ELj4294967295EEEiN2at4cuda3cub6detail10OpaqueTypeILi2EEEEELb1EPKiPiPKSB_PSB_NS0_19identity_decomposerEEEvT1_T2_T3_T4_jT5_jj,comdat
.Lfunc_end0:
	.size	_ZN7rocprim17ROCPRIM_304000_NS6detail28radix_sort_block_sort_kernelINS1_36wrapped_radix_sort_block_sort_configINS0_13kernel_configILj256ELj4ELj4294967295EEEiN2at4cuda3cub6detail10OpaqueTypeILi2EEEEELb1EPKiPiPKSB_PSB_NS0_19identity_decomposerEEEvT1_T2_T3_T4_jT5_jj, .Lfunc_end0-_ZN7rocprim17ROCPRIM_304000_NS6detail28radix_sort_block_sort_kernelINS1_36wrapped_radix_sort_block_sort_configINS0_13kernel_configILj256ELj4ELj4294967295EEEiN2at4cuda3cub6detail10OpaqueTypeILi2EEEEELb1EPKiPiPKSB_PSB_NS0_19identity_decomposerEEEvT1_T2_T3_T4_jT5_jj
                                        ; -- End function
	.set _ZN7rocprim17ROCPRIM_304000_NS6detail28radix_sort_block_sort_kernelINS1_36wrapped_radix_sort_block_sort_configINS0_13kernel_configILj256ELj4ELj4294967295EEEiN2at4cuda3cub6detail10OpaqueTypeILi2EEEEELb1EPKiPiPKSB_PSB_NS0_19identity_decomposerEEEvT1_T2_T3_T4_jT5_jj.num_vgpr, 47
	.set _ZN7rocprim17ROCPRIM_304000_NS6detail28radix_sort_block_sort_kernelINS1_36wrapped_radix_sort_block_sort_configINS0_13kernel_configILj256ELj4ELj4294967295EEEiN2at4cuda3cub6detail10OpaqueTypeILi2EEEEELb1EPKiPiPKSB_PSB_NS0_19identity_decomposerEEEvT1_T2_T3_T4_jT5_jj.num_agpr, 0
	.set _ZN7rocprim17ROCPRIM_304000_NS6detail28radix_sort_block_sort_kernelINS1_36wrapped_radix_sort_block_sort_configINS0_13kernel_configILj256ELj4ELj4294967295EEEiN2at4cuda3cub6detail10OpaqueTypeILi2EEEEELb1EPKiPiPKSB_PSB_NS0_19identity_decomposerEEEvT1_T2_T3_T4_jT5_jj.numbered_sgpr, 46
	.set _ZN7rocprim17ROCPRIM_304000_NS6detail28radix_sort_block_sort_kernelINS1_36wrapped_radix_sort_block_sort_configINS0_13kernel_configILj256ELj4ELj4294967295EEEiN2at4cuda3cub6detail10OpaqueTypeILi2EEEEELb1EPKiPiPKSB_PSB_NS0_19identity_decomposerEEEvT1_T2_T3_T4_jT5_jj.num_named_barrier, 0
	.set _ZN7rocprim17ROCPRIM_304000_NS6detail28radix_sort_block_sort_kernelINS1_36wrapped_radix_sort_block_sort_configINS0_13kernel_configILj256ELj4ELj4294967295EEEiN2at4cuda3cub6detail10OpaqueTypeILi2EEEEELb1EPKiPiPKSB_PSB_NS0_19identity_decomposerEEEvT1_T2_T3_T4_jT5_jj.private_seg_size, 0
	.set _ZN7rocprim17ROCPRIM_304000_NS6detail28radix_sort_block_sort_kernelINS1_36wrapped_radix_sort_block_sort_configINS0_13kernel_configILj256ELj4ELj4294967295EEEiN2at4cuda3cub6detail10OpaqueTypeILi2EEEEELb1EPKiPiPKSB_PSB_NS0_19identity_decomposerEEEvT1_T2_T3_T4_jT5_jj.uses_vcc, 1
	.set _ZN7rocprim17ROCPRIM_304000_NS6detail28radix_sort_block_sort_kernelINS1_36wrapped_radix_sort_block_sort_configINS0_13kernel_configILj256ELj4ELj4294967295EEEiN2at4cuda3cub6detail10OpaqueTypeILi2EEEEELb1EPKiPiPKSB_PSB_NS0_19identity_decomposerEEEvT1_T2_T3_T4_jT5_jj.uses_flat_scratch, 0
	.set _ZN7rocprim17ROCPRIM_304000_NS6detail28radix_sort_block_sort_kernelINS1_36wrapped_radix_sort_block_sort_configINS0_13kernel_configILj256ELj4ELj4294967295EEEiN2at4cuda3cub6detail10OpaqueTypeILi2EEEEELb1EPKiPiPKSB_PSB_NS0_19identity_decomposerEEEvT1_T2_T3_T4_jT5_jj.has_dyn_sized_stack, 0
	.set _ZN7rocprim17ROCPRIM_304000_NS6detail28radix_sort_block_sort_kernelINS1_36wrapped_radix_sort_block_sort_configINS0_13kernel_configILj256ELj4ELj4294967295EEEiN2at4cuda3cub6detail10OpaqueTypeILi2EEEEELb1EPKiPiPKSB_PSB_NS0_19identity_decomposerEEEvT1_T2_T3_T4_jT5_jj.has_recursion, 0
	.set _ZN7rocprim17ROCPRIM_304000_NS6detail28radix_sort_block_sort_kernelINS1_36wrapped_radix_sort_block_sort_configINS0_13kernel_configILj256ELj4ELj4294967295EEEiN2at4cuda3cub6detail10OpaqueTypeILi2EEEEELb1EPKiPiPKSB_PSB_NS0_19identity_decomposerEEEvT1_T2_T3_T4_jT5_jj.has_indirect_call, 0
	.section	.AMDGPU.csdata,"",@progbits
; Kernel info:
; codeLenInByte = 3920
; TotalNumSgprs: 52
; NumVgprs: 47
; NumAgprs: 0
; TotalNumVgprs: 47
; ScratchSize: 0
; MemoryBound: 0
; FloatMode: 240
; IeeeMode: 1
; LDSByteSize: 4112 bytes/workgroup (compile time only)
; SGPRBlocks: 6
; VGPRBlocks: 5
; NumSGPRsForWavesPerEU: 52
; NumVGPRsForWavesPerEU: 47
; AccumOffset: 48
; Occupancy: 8
; WaveLimiterHint : 1
; COMPUTE_PGM_RSRC2:SCRATCH_EN: 0
; COMPUTE_PGM_RSRC2:USER_SGPR: 2
; COMPUTE_PGM_RSRC2:TRAP_HANDLER: 0
; COMPUTE_PGM_RSRC2:TGID_X_EN: 1
; COMPUTE_PGM_RSRC2:TGID_Y_EN: 0
; COMPUTE_PGM_RSRC2:TGID_Z_EN: 0
; COMPUTE_PGM_RSRC2:TIDIG_COMP_CNT: 2
; COMPUTE_PGM_RSRC3_GFX90A:ACCUM_OFFSET: 11
; COMPUTE_PGM_RSRC3_GFX90A:TG_SPLIT: 0
	.section	.text._ZN7rocprim17ROCPRIM_304000_NS6detail39device_merge_sort_compile_time_verifierINS1_36wrapped_merge_sort_block_sort_configINS1_28merge_sort_block_sort_configILj256ELj4ELNS0_20block_sort_algorithmE0EEEiN2at4cuda3cub6detail10OpaqueTypeILi2EEEEENS1_37wrapped_merge_sort_block_merge_configINS0_14default_configEiSC_EEEEvv,"axG",@progbits,_ZN7rocprim17ROCPRIM_304000_NS6detail39device_merge_sort_compile_time_verifierINS1_36wrapped_merge_sort_block_sort_configINS1_28merge_sort_block_sort_configILj256ELj4ELNS0_20block_sort_algorithmE0EEEiN2at4cuda3cub6detail10OpaqueTypeILi2EEEEENS1_37wrapped_merge_sort_block_merge_configINS0_14default_configEiSC_EEEEvv,comdat
	.protected	_ZN7rocprim17ROCPRIM_304000_NS6detail39device_merge_sort_compile_time_verifierINS1_36wrapped_merge_sort_block_sort_configINS1_28merge_sort_block_sort_configILj256ELj4ELNS0_20block_sort_algorithmE0EEEiN2at4cuda3cub6detail10OpaqueTypeILi2EEEEENS1_37wrapped_merge_sort_block_merge_configINS0_14default_configEiSC_EEEEvv ; -- Begin function _ZN7rocprim17ROCPRIM_304000_NS6detail39device_merge_sort_compile_time_verifierINS1_36wrapped_merge_sort_block_sort_configINS1_28merge_sort_block_sort_configILj256ELj4ELNS0_20block_sort_algorithmE0EEEiN2at4cuda3cub6detail10OpaqueTypeILi2EEEEENS1_37wrapped_merge_sort_block_merge_configINS0_14default_configEiSC_EEEEvv
	.globl	_ZN7rocprim17ROCPRIM_304000_NS6detail39device_merge_sort_compile_time_verifierINS1_36wrapped_merge_sort_block_sort_configINS1_28merge_sort_block_sort_configILj256ELj4ELNS0_20block_sort_algorithmE0EEEiN2at4cuda3cub6detail10OpaqueTypeILi2EEEEENS1_37wrapped_merge_sort_block_merge_configINS0_14default_configEiSC_EEEEvv
	.p2align	8
	.type	_ZN7rocprim17ROCPRIM_304000_NS6detail39device_merge_sort_compile_time_verifierINS1_36wrapped_merge_sort_block_sort_configINS1_28merge_sort_block_sort_configILj256ELj4ELNS0_20block_sort_algorithmE0EEEiN2at4cuda3cub6detail10OpaqueTypeILi2EEEEENS1_37wrapped_merge_sort_block_merge_configINS0_14default_configEiSC_EEEEvv,@function
_ZN7rocprim17ROCPRIM_304000_NS6detail39device_merge_sort_compile_time_verifierINS1_36wrapped_merge_sort_block_sort_configINS1_28merge_sort_block_sort_configILj256ELj4ELNS0_20block_sort_algorithmE0EEEiN2at4cuda3cub6detail10OpaqueTypeILi2EEEEENS1_37wrapped_merge_sort_block_merge_configINS0_14default_configEiSC_EEEEvv: ; @_ZN7rocprim17ROCPRIM_304000_NS6detail39device_merge_sort_compile_time_verifierINS1_36wrapped_merge_sort_block_sort_configINS1_28merge_sort_block_sort_configILj256ELj4ELNS0_20block_sort_algorithmE0EEEiN2at4cuda3cub6detail10OpaqueTypeILi2EEEEENS1_37wrapped_merge_sort_block_merge_configINS0_14default_configEiSC_EEEEvv
; %bb.0:
	s_endpgm
	.section	.rodata,"a",@progbits
	.p2align	6, 0x0
	.amdhsa_kernel _ZN7rocprim17ROCPRIM_304000_NS6detail39device_merge_sort_compile_time_verifierINS1_36wrapped_merge_sort_block_sort_configINS1_28merge_sort_block_sort_configILj256ELj4ELNS0_20block_sort_algorithmE0EEEiN2at4cuda3cub6detail10OpaqueTypeILi2EEEEENS1_37wrapped_merge_sort_block_merge_configINS0_14default_configEiSC_EEEEvv
		.amdhsa_group_segment_fixed_size 0
		.amdhsa_private_segment_fixed_size 0
		.amdhsa_kernarg_size 0
		.amdhsa_user_sgpr_count 0
		.amdhsa_user_sgpr_dispatch_ptr 0
		.amdhsa_user_sgpr_queue_ptr 0
		.amdhsa_user_sgpr_kernarg_segment_ptr 0
		.amdhsa_user_sgpr_dispatch_id 0
		.amdhsa_user_sgpr_kernarg_preload_length 0
		.amdhsa_user_sgpr_kernarg_preload_offset 0
		.amdhsa_user_sgpr_private_segment_size 0
		.amdhsa_uses_dynamic_stack 0
		.amdhsa_enable_private_segment 0
		.amdhsa_system_sgpr_workgroup_id_x 1
		.amdhsa_system_sgpr_workgroup_id_y 0
		.amdhsa_system_sgpr_workgroup_id_z 0
		.amdhsa_system_sgpr_workgroup_info 0
		.amdhsa_system_vgpr_workitem_id 0
		.amdhsa_next_free_vgpr 1
		.amdhsa_next_free_sgpr 0
		.amdhsa_accum_offset 4
		.amdhsa_reserve_vcc 0
		.amdhsa_float_round_mode_32 0
		.amdhsa_float_round_mode_16_64 0
		.amdhsa_float_denorm_mode_32 3
		.amdhsa_float_denorm_mode_16_64 3
		.amdhsa_dx10_clamp 1
		.amdhsa_ieee_mode 1
		.amdhsa_fp16_overflow 0
		.amdhsa_tg_split 0
		.amdhsa_exception_fp_ieee_invalid_op 0
		.amdhsa_exception_fp_denorm_src 0
		.amdhsa_exception_fp_ieee_div_zero 0
		.amdhsa_exception_fp_ieee_overflow 0
		.amdhsa_exception_fp_ieee_underflow 0
		.amdhsa_exception_fp_ieee_inexact 0
		.amdhsa_exception_int_div_zero 0
	.end_amdhsa_kernel
	.section	.text._ZN7rocprim17ROCPRIM_304000_NS6detail39device_merge_sort_compile_time_verifierINS1_36wrapped_merge_sort_block_sort_configINS1_28merge_sort_block_sort_configILj256ELj4ELNS0_20block_sort_algorithmE0EEEiN2at4cuda3cub6detail10OpaqueTypeILi2EEEEENS1_37wrapped_merge_sort_block_merge_configINS0_14default_configEiSC_EEEEvv,"axG",@progbits,_ZN7rocprim17ROCPRIM_304000_NS6detail39device_merge_sort_compile_time_verifierINS1_36wrapped_merge_sort_block_sort_configINS1_28merge_sort_block_sort_configILj256ELj4ELNS0_20block_sort_algorithmE0EEEiN2at4cuda3cub6detail10OpaqueTypeILi2EEEEENS1_37wrapped_merge_sort_block_merge_configINS0_14default_configEiSC_EEEEvv,comdat
.Lfunc_end1:
	.size	_ZN7rocprim17ROCPRIM_304000_NS6detail39device_merge_sort_compile_time_verifierINS1_36wrapped_merge_sort_block_sort_configINS1_28merge_sort_block_sort_configILj256ELj4ELNS0_20block_sort_algorithmE0EEEiN2at4cuda3cub6detail10OpaqueTypeILi2EEEEENS1_37wrapped_merge_sort_block_merge_configINS0_14default_configEiSC_EEEEvv, .Lfunc_end1-_ZN7rocprim17ROCPRIM_304000_NS6detail39device_merge_sort_compile_time_verifierINS1_36wrapped_merge_sort_block_sort_configINS1_28merge_sort_block_sort_configILj256ELj4ELNS0_20block_sort_algorithmE0EEEiN2at4cuda3cub6detail10OpaqueTypeILi2EEEEENS1_37wrapped_merge_sort_block_merge_configINS0_14default_configEiSC_EEEEvv
                                        ; -- End function
	.set _ZN7rocprim17ROCPRIM_304000_NS6detail39device_merge_sort_compile_time_verifierINS1_36wrapped_merge_sort_block_sort_configINS1_28merge_sort_block_sort_configILj256ELj4ELNS0_20block_sort_algorithmE0EEEiN2at4cuda3cub6detail10OpaqueTypeILi2EEEEENS1_37wrapped_merge_sort_block_merge_configINS0_14default_configEiSC_EEEEvv.num_vgpr, 0
	.set _ZN7rocprim17ROCPRIM_304000_NS6detail39device_merge_sort_compile_time_verifierINS1_36wrapped_merge_sort_block_sort_configINS1_28merge_sort_block_sort_configILj256ELj4ELNS0_20block_sort_algorithmE0EEEiN2at4cuda3cub6detail10OpaqueTypeILi2EEEEENS1_37wrapped_merge_sort_block_merge_configINS0_14default_configEiSC_EEEEvv.num_agpr, 0
	.set _ZN7rocprim17ROCPRIM_304000_NS6detail39device_merge_sort_compile_time_verifierINS1_36wrapped_merge_sort_block_sort_configINS1_28merge_sort_block_sort_configILj256ELj4ELNS0_20block_sort_algorithmE0EEEiN2at4cuda3cub6detail10OpaqueTypeILi2EEEEENS1_37wrapped_merge_sort_block_merge_configINS0_14default_configEiSC_EEEEvv.numbered_sgpr, 0
	.set _ZN7rocprim17ROCPRIM_304000_NS6detail39device_merge_sort_compile_time_verifierINS1_36wrapped_merge_sort_block_sort_configINS1_28merge_sort_block_sort_configILj256ELj4ELNS0_20block_sort_algorithmE0EEEiN2at4cuda3cub6detail10OpaqueTypeILi2EEEEENS1_37wrapped_merge_sort_block_merge_configINS0_14default_configEiSC_EEEEvv.num_named_barrier, 0
	.set _ZN7rocprim17ROCPRIM_304000_NS6detail39device_merge_sort_compile_time_verifierINS1_36wrapped_merge_sort_block_sort_configINS1_28merge_sort_block_sort_configILj256ELj4ELNS0_20block_sort_algorithmE0EEEiN2at4cuda3cub6detail10OpaqueTypeILi2EEEEENS1_37wrapped_merge_sort_block_merge_configINS0_14default_configEiSC_EEEEvv.private_seg_size, 0
	.set _ZN7rocprim17ROCPRIM_304000_NS6detail39device_merge_sort_compile_time_verifierINS1_36wrapped_merge_sort_block_sort_configINS1_28merge_sort_block_sort_configILj256ELj4ELNS0_20block_sort_algorithmE0EEEiN2at4cuda3cub6detail10OpaqueTypeILi2EEEEENS1_37wrapped_merge_sort_block_merge_configINS0_14default_configEiSC_EEEEvv.uses_vcc, 0
	.set _ZN7rocprim17ROCPRIM_304000_NS6detail39device_merge_sort_compile_time_verifierINS1_36wrapped_merge_sort_block_sort_configINS1_28merge_sort_block_sort_configILj256ELj4ELNS0_20block_sort_algorithmE0EEEiN2at4cuda3cub6detail10OpaqueTypeILi2EEEEENS1_37wrapped_merge_sort_block_merge_configINS0_14default_configEiSC_EEEEvv.uses_flat_scratch, 0
	.set _ZN7rocprim17ROCPRIM_304000_NS6detail39device_merge_sort_compile_time_verifierINS1_36wrapped_merge_sort_block_sort_configINS1_28merge_sort_block_sort_configILj256ELj4ELNS0_20block_sort_algorithmE0EEEiN2at4cuda3cub6detail10OpaqueTypeILi2EEEEENS1_37wrapped_merge_sort_block_merge_configINS0_14default_configEiSC_EEEEvv.has_dyn_sized_stack, 0
	.set _ZN7rocprim17ROCPRIM_304000_NS6detail39device_merge_sort_compile_time_verifierINS1_36wrapped_merge_sort_block_sort_configINS1_28merge_sort_block_sort_configILj256ELj4ELNS0_20block_sort_algorithmE0EEEiN2at4cuda3cub6detail10OpaqueTypeILi2EEEEENS1_37wrapped_merge_sort_block_merge_configINS0_14default_configEiSC_EEEEvv.has_recursion, 0
	.set _ZN7rocprim17ROCPRIM_304000_NS6detail39device_merge_sort_compile_time_verifierINS1_36wrapped_merge_sort_block_sort_configINS1_28merge_sort_block_sort_configILj256ELj4ELNS0_20block_sort_algorithmE0EEEiN2at4cuda3cub6detail10OpaqueTypeILi2EEEEENS1_37wrapped_merge_sort_block_merge_configINS0_14default_configEiSC_EEEEvv.has_indirect_call, 0
	.section	.AMDGPU.csdata,"",@progbits
; Kernel info:
; codeLenInByte = 4
; TotalNumSgprs: 6
; NumVgprs: 0
; NumAgprs: 0
; TotalNumVgprs: 0
; ScratchSize: 0
; MemoryBound: 0
; FloatMode: 240
; IeeeMode: 1
; LDSByteSize: 0 bytes/workgroup (compile time only)
; SGPRBlocks: 0
; VGPRBlocks: 0
; NumSGPRsForWavesPerEU: 6
; NumVGPRsForWavesPerEU: 1
; AccumOffset: 4
; Occupancy: 8
; WaveLimiterHint : 0
; COMPUTE_PGM_RSRC2:SCRATCH_EN: 0
; COMPUTE_PGM_RSRC2:USER_SGPR: 0
; COMPUTE_PGM_RSRC2:TRAP_HANDLER: 0
; COMPUTE_PGM_RSRC2:TGID_X_EN: 1
; COMPUTE_PGM_RSRC2:TGID_Y_EN: 0
; COMPUTE_PGM_RSRC2:TGID_Z_EN: 0
; COMPUTE_PGM_RSRC2:TIDIG_COMP_CNT: 0
; COMPUTE_PGM_RSRC3_GFX90A:ACCUM_OFFSET: 0
; COMPUTE_PGM_RSRC3_GFX90A:TG_SPLIT: 0
	.section	.text._ZN7rocprim17ROCPRIM_304000_NS6detail45device_block_merge_mergepath_partition_kernelINS1_37wrapped_merge_sort_block_merge_configINS0_14default_configEiN2at4cuda3cub6detail10OpaqueTypeILi2EEEEEPijNS1_19radix_merge_compareILb1ELb0EiNS0_19identity_decomposerEEEEEvT0_T1_jPSH_T2_SH_,"axG",@progbits,_ZN7rocprim17ROCPRIM_304000_NS6detail45device_block_merge_mergepath_partition_kernelINS1_37wrapped_merge_sort_block_merge_configINS0_14default_configEiN2at4cuda3cub6detail10OpaqueTypeILi2EEEEEPijNS1_19radix_merge_compareILb1ELb0EiNS0_19identity_decomposerEEEEEvT0_T1_jPSH_T2_SH_,comdat
	.protected	_ZN7rocprim17ROCPRIM_304000_NS6detail45device_block_merge_mergepath_partition_kernelINS1_37wrapped_merge_sort_block_merge_configINS0_14default_configEiN2at4cuda3cub6detail10OpaqueTypeILi2EEEEEPijNS1_19radix_merge_compareILb1ELb0EiNS0_19identity_decomposerEEEEEvT0_T1_jPSH_T2_SH_ ; -- Begin function _ZN7rocprim17ROCPRIM_304000_NS6detail45device_block_merge_mergepath_partition_kernelINS1_37wrapped_merge_sort_block_merge_configINS0_14default_configEiN2at4cuda3cub6detail10OpaqueTypeILi2EEEEEPijNS1_19radix_merge_compareILb1ELb0EiNS0_19identity_decomposerEEEEEvT0_T1_jPSH_T2_SH_
	.globl	_ZN7rocprim17ROCPRIM_304000_NS6detail45device_block_merge_mergepath_partition_kernelINS1_37wrapped_merge_sort_block_merge_configINS0_14default_configEiN2at4cuda3cub6detail10OpaqueTypeILi2EEEEEPijNS1_19radix_merge_compareILb1ELb0EiNS0_19identity_decomposerEEEEEvT0_T1_jPSH_T2_SH_
	.p2align	8
	.type	_ZN7rocprim17ROCPRIM_304000_NS6detail45device_block_merge_mergepath_partition_kernelINS1_37wrapped_merge_sort_block_merge_configINS0_14default_configEiN2at4cuda3cub6detail10OpaqueTypeILi2EEEEEPijNS1_19radix_merge_compareILb1ELb0EiNS0_19identity_decomposerEEEEEvT0_T1_jPSH_T2_SH_,@function
_ZN7rocprim17ROCPRIM_304000_NS6detail45device_block_merge_mergepath_partition_kernelINS1_37wrapped_merge_sort_block_merge_configINS0_14default_configEiN2at4cuda3cub6detail10OpaqueTypeILi2EEEEEPijNS1_19radix_merge_compareILb1ELb0EiNS0_19identity_decomposerEEEEEvT0_T1_jPSH_T2_SH_: ; @_ZN7rocprim17ROCPRIM_304000_NS6detail45device_block_merge_mergepath_partition_kernelINS1_37wrapped_merge_sort_block_merge_configINS0_14default_configEiN2at4cuda3cub6detail10OpaqueTypeILi2EEEEEPijNS1_19radix_merge_compareILb1ELb0EiNS0_19identity_decomposerEEEEEvT0_T1_jPSH_T2_SH_
; %bb.0:
	s_load_dwordx2 s[4:5], s[0:1], 0x8
	v_lshl_or_b32 v0, s2, 7, v0
	s_waitcnt lgkmcnt(0)
	v_cmp_gt_u32_e32 vcc, s5, v0
	s_and_saveexec_b64 s[2:3], vcc
	s_cbranch_execz .LBB2_6
; %bb.1:
	s_load_dword s2, s[0:1], 0x1c
	s_waitcnt lgkmcnt(0)
	s_lshr_b32 s3, s2, 9
	s_and_b32 s3, s3, 0x7ffffe
	s_add_i32 s5, s3, -1
	s_sub_i32 s3, 0, s3
	v_and_b32_e32 v1, s3, v0
	v_and_b32_e32 v2, s5, v0
	v_lshlrev_b32_e32 v1, 10, v1
	v_lshlrev_b32_e32 v3, 10, v2
	v_min_u32_e32 v2, s4, v1
	v_add_u32_e32 v1, s2, v1
	v_min_u32_e32 v4, s4, v1
	v_add_u32_e32 v1, s2, v4
	v_min_u32_e32 v1, s4, v1
	v_sub_u32_e32 v5, v1, v2
	v_min_u32_e32 v10, v5, v3
	v_sub_u32_e32 v3, v4, v2
	v_sub_u32_e32 v1, v1, v4
	v_sub_u32_e64 v1, v10, v1 clamp
	v_min_u32_e32 v11, v10, v3
	v_cmp_lt_u32_e32 vcc, v1, v11
	s_and_saveexec_b64 s[2:3], vcc
	s_cbranch_execz .LBB2_5
; %bb.2:
	s_load_dwordx2 s[4:5], s[0:1], 0x0
	v_mov_b32_e32 v5, 0
	v_mov_b32_e32 v3, v5
	s_waitcnt lgkmcnt(0)
	v_lshl_add_u64 v[6:7], v[2:3], 2, s[4:5]
	v_lshl_add_u64 v[8:9], v[4:5], 2, s[4:5]
	s_mov_b64 s[4:5], 0
.LBB2_3:                                ; =>This Inner Loop Header: Depth=1
	v_add_u32_e32 v3, v11, v1
	v_lshrrev_b32_e32 v4, 1, v3
	v_mov_b32_e32 v13, v5
	v_xad_u32 v12, v4, -1, v10
	v_lshl_add_u64 v[14:15], v[4:5], 2, v[6:7]
	v_lshl_add_u64 v[12:13], v[12:13], 2, v[8:9]
	global_load_dword v3, v[14:15], off
	global_load_dword v16, v[12:13], off
	v_add_u32_e32 v12, 1, v4
	s_waitcnt vmcnt(0)
	v_cmp_gt_i32_e32 vcc, v16, v3
	s_nop 1
	v_cndmask_b32_e32 v11, v11, v4, vcc
	v_cndmask_b32_e32 v1, v12, v1, vcc
	v_cmp_ge_u32_e32 vcc, v1, v11
	s_or_b64 s[4:5], vcc, s[4:5]
	s_andn2_b64 exec, exec, s[4:5]
	s_cbranch_execnz .LBB2_3
; %bb.4:
	s_or_b64 exec, exec, s[4:5]
.LBB2_5:
	s_or_b64 exec, exec, s[2:3]
	s_load_dwordx2 s[0:1], s[0:1], 0x10
	v_add_u32_e32 v2, v1, v2
	v_mov_b32_e32 v1, 0
	s_waitcnt lgkmcnt(0)
	v_lshl_add_u64 v[0:1], v[0:1], 2, s[0:1]
	global_store_dword v[0:1], v2, off
.LBB2_6:
	s_endpgm
	.section	.rodata,"a",@progbits
	.p2align	6, 0x0
	.amdhsa_kernel _ZN7rocprim17ROCPRIM_304000_NS6detail45device_block_merge_mergepath_partition_kernelINS1_37wrapped_merge_sort_block_merge_configINS0_14default_configEiN2at4cuda3cub6detail10OpaqueTypeILi2EEEEEPijNS1_19radix_merge_compareILb1ELb0EiNS0_19identity_decomposerEEEEEvT0_T1_jPSH_T2_SH_
		.amdhsa_group_segment_fixed_size 0
		.amdhsa_private_segment_fixed_size 0
		.amdhsa_kernarg_size 32
		.amdhsa_user_sgpr_count 2
		.amdhsa_user_sgpr_dispatch_ptr 0
		.amdhsa_user_sgpr_queue_ptr 0
		.amdhsa_user_sgpr_kernarg_segment_ptr 1
		.amdhsa_user_sgpr_dispatch_id 0
		.amdhsa_user_sgpr_kernarg_preload_length 0
		.amdhsa_user_sgpr_kernarg_preload_offset 0
		.amdhsa_user_sgpr_private_segment_size 0
		.amdhsa_uses_dynamic_stack 0
		.amdhsa_enable_private_segment 0
		.amdhsa_system_sgpr_workgroup_id_x 1
		.amdhsa_system_sgpr_workgroup_id_y 0
		.amdhsa_system_sgpr_workgroup_id_z 0
		.amdhsa_system_sgpr_workgroup_info 0
		.amdhsa_system_vgpr_workitem_id 0
		.amdhsa_next_free_vgpr 17
		.amdhsa_next_free_sgpr 6
		.amdhsa_accum_offset 20
		.amdhsa_reserve_vcc 1
		.amdhsa_float_round_mode_32 0
		.amdhsa_float_round_mode_16_64 0
		.amdhsa_float_denorm_mode_32 3
		.amdhsa_float_denorm_mode_16_64 3
		.amdhsa_dx10_clamp 1
		.amdhsa_ieee_mode 1
		.amdhsa_fp16_overflow 0
		.amdhsa_tg_split 0
		.amdhsa_exception_fp_ieee_invalid_op 0
		.amdhsa_exception_fp_denorm_src 0
		.amdhsa_exception_fp_ieee_div_zero 0
		.amdhsa_exception_fp_ieee_overflow 0
		.amdhsa_exception_fp_ieee_underflow 0
		.amdhsa_exception_fp_ieee_inexact 0
		.amdhsa_exception_int_div_zero 0
	.end_amdhsa_kernel
	.section	.text._ZN7rocprim17ROCPRIM_304000_NS6detail45device_block_merge_mergepath_partition_kernelINS1_37wrapped_merge_sort_block_merge_configINS0_14default_configEiN2at4cuda3cub6detail10OpaqueTypeILi2EEEEEPijNS1_19radix_merge_compareILb1ELb0EiNS0_19identity_decomposerEEEEEvT0_T1_jPSH_T2_SH_,"axG",@progbits,_ZN7rocprim17ROCPRIM_304000_NS6detail45device_block_merge_mergepath_partition_kernelINS1_37wrapped_merge_sort_block_merge_configINS0_14default_configEiN2at4cuda3cub6detail10OpaqueTypeILi2EEEEEPijNS1_19radix_merge_compareILb1ELb0EiNS0_19identity_decomposerEEEEEvT0_T1_jPSH_T2_SH_,comdat
.Lfunc_end2:
	.size	_ZN7rocprim17ROCPRIM_304000_NS6detail45device_block_merge_mergepath_partition_kernelINS1_37wrapped_merge_sort_block_merge_configINS0_14default_configEiN2at4cuda3cub6detail10OpaqueTypeILi2EEEEEPijNS1_19radix_merge_compareILb1ELb0EiNS0_19identity_decomposerEEEEEvT0_T1_jPSH_T2_SH_, .Lfunc_end2-_ZN7rocprim17ROCPRIM_304000_NS6detail45device_block_merge_mergepath_partition_kernelINS1_37wrapped_merge_sort_block_merge_configINS0_14default_configEiN2at4cuda3cub6detail10OpaqueTypeILi2EEEEEPijNS1_19radix_merge_compareILb1ELb0EiNS0_19identity_decomposerEEEEEvT0_T1_jPSH_T2_SH_
                                        ; -- End function
	.set _ZN7rocprim17ROCPRIM_304000_NS6detail45device_block_merge_mergepath_partition_kernelINS1_37wrapped_merge_sort_block_merge_configINS0_14default_configEiN2at4cuda3cub6detail10OpaqueTypeILi2EEEEEPijNS1_19radix_merge_compareILb1ELb0EiNS0_19identity_decomposerEEEEEvT0_T1_jPSH_T2_SH_.num_vgpr, 17
	.set _ZN7rocprim17ROCPRIM_304000_NS6detail45device_block_merge_mergepath_partition_kernelINS1_37wrapped_merge_sort_block_merge_configINS0_14default_configEiN2at4cuda3cub6detail10OpaqueTypeILi2EEEEEPijNS1_19radix_merge_compareILb1ELb0EiNS0_19identity_decomposerEEEEEvT0_T1_jPSH_T2_SH_.num_agpr, 0
	.set _ZN7rocprim17ROCPRIM_304000_NS6detail45device_block_merge_mergepath_partition_kernelINS1_37wrapped_merge_sort_block_merge_configINS0_14default_configEiN2at4cuda3cub6detail10OpaqueTypeILi2EEEEEPijNS1_19radix_merge_compareILb1ELb0EiNS0_19identity_decomposerEEEEEvT0_T1_jPSH_T2_SH_.numbered_sgpr, 6
	.set _ZN7rocprim17ROCPRIM_304000_NS6detail45device_block_merge_mergepath_partition_kernelINS1_37wrapped_merge_sort_block_merge_configINS0_14default_configEiN2at4cuda3cub6detail10OpaqueTypeILi2EEEEEPijNS1_19radix_merge_compareILb1ELb0EiNS0_19identity_decomposerEEEEEvT0_T1_jPSH_T2_SH_.num_named_barrier, 0
	.set _ZN7rocprim17ROCPRIM_304000_NS6detail45device_block_merge_mergepath_partition_kernelINS1_37wrapped_merge_sort_block_merge_configINS0_14default_configEiN2at4cuda3cub6detail10OpaqueTypeILi2EEEEEPijNS1_19radix_merge_compareILb1ELb0EiNS0_19identity_decomposerEEEEEvT0_T1_jPSH_T2_SH_.private_seg_size, 0
	.set _ZN7rocprim17ROCPRIM_304000_NS6detail45device_block_merge_mergepath_partition_kernelINS1_37wrapped_merge_sort_block_merge_configINS0_14default_configEiN2at4cuda3cub6detail10OpaqueTypeILi2EEEEEPijNS1_19radix_merge_compareILb1ELb0EiNS0_19identity_decomposerEEEEEvT0_T1_jPSH_T2_SH_.uses_vcc, 1
	.set _ZN7rocprim17ROCPRIM_304000_NS6detail45device_block_merge_mergepath_partition_kernelINS1_37wrapped_merge_sort_block_merge_configINS0_14default_configEiN2at4cuda3cub6detail10OpaqueTypeILi2EEEEEPijNS1_19radix_merge_compareILb1ELb0EiNS0_19identity_decomposerEEEEEvT0_T1_jPSH_T2_SH_.uses_flat_scratch, 0
	.set _ZN7rocprim17ROCPRIM_304000_NS6detail45device_block_merge_mergepath_partition_kernelINS1_37wrapped_merge_sort_block_merge_configINS0_14default_configEiN2at4cuda3cub6detail10OpaqueTypeILi2EEEEEPijNS1_19radix_merge_compareILb1ELb0EiNS0_19identity_decomposerEEEEEvT0_T1_jPSH_T2_SH_.has_dyn_sized_stack, 0
	.set _ZN7rocprim17ROCPRIM_304000_NS6detail45device_block_merge_mergepath_partition_kernelINS1_37wrapped_merge_sort_block_merge_configINS0_14default_configEiN2at4cuda3cub6detail10OpaqueTypeILi2EEEEEPijNS1_19radix_merge_compareILb1ELb0EiNS0_19identity_decomposerEEEEEvT0_T1_jPSH_T2_SH_.has_recursion, 0
	.set _ZN7rocprim17ROCPRIM_304000_NS6detail45device_block_merge_mergepath_partition_kernelINS1_37wrapped_merge_sort_block_merge_configINS0_14default_configEiN2at4cuda3cub6detail10OpaqueTypeILi2EEEEEPijNS1_19radix_merge_compareILb1ELb0EiNS0_19identity_decomposerEEEEEvT0_T1_jPSH_T2_SH_.has_indirect_call, 0
	.section	.AMDGPU.csdata,"",@progbits
; Kernel info:
; codeLenInByte = 320
; TotalNumSgprs: 12
; NumVgprs: 17
; NumAgprs: 0
; TotalNumVgprs: 17
; ScratchSize: 0
; MemoryBound: 0
; FloatMode: 240
; IeeeMode: 1
; LDSByteSize: 0 bytes/workgroup (compile time only)
; SGPRBlocks: 1
; VGPRBlocks: 2
; NumSGPRsForWavesPerEU: 12
; NumVGPRsForWavesPerEU: 17
; AccumOffset: 20
; Occupancy: 8
; WaveLimiterHint : 0
; COMPUTE_PGM_RSRC2:SCRATCH_EN: 0
; COMPUTE_PGM_RSRC2:USER_SGPR: 2
; COMPUTE_PGM_RSRC2:TRAP_HANDLER: 0
; COMPUTE_PGM_RSRC2:TGID_X_EN: 1
; COMPUTE_PGM_RSRC2:TGID_Y_EN: 0
; COMPUTE_PGM_RSRC2:TGID_Z_EN: 0
; COMPUTE_PGM_RSRC2:TIDIG_COMP_CNT: 0
; COMPUTE_PGM_RSRC3_GFX90A:ACCUM_OFFSET: 4
; COMPUTE_PGM_RSRC3_GFX90A:TG_SPLIT: 0
	.section	.text._ZN7rocprim17ROCPRIM_304000_NS6detail35device_block_merge_mergepath_kernelINS1_37wrapped_merge_sort_block_merge_configINS0_14default_configEiN2at4cuda3cub6detail10OpaqueTypeILi2EEEEEPiSC_PSA_SD_jNS1_19radix_merge_compareILb1ELb0EiNS0_19identity_decomposerEEEEEvT0_T1_T2_T3_T4_SL_jT5_PKSL_NS1_7vsmem_tE,"axG",@progbits,_ZN7rocprim17ROCPRIM_304000_NS6detail35device_block_merge_mergepath_kernelINS1_37wrapped_merge_sort_block_merge_configINS0_14default_configEiN2at4cuda3cub6detail10OpaqueTypeILi2EEEEEPiSC_PSA_SD_jNS1_19radix_merge_compareILb1ELb0EiNS0_19identity_decomposerEEEEEvT0_T1_T2_T3_T4_SL_jT5_PKSL_NS1_7vsmem_tE,comdat
	.protected	_ZN7rocprim17ROCPRIM_304000_NS6detail35device_block_merge_mergepath_kernelINS1_37wrapped_merge_sort_block_merge_configINS0_14default_configEiN2at4cuda3cub6detail10OpaqueTypeILi2EEEEEPiSC_PSA_SD_jNS1_19radix_merge_compareILb1ELb0EiNS0_19identity_decomposerEEEEEvT0_T1_T2_T3_T4_SL_jT5_PKSL_NS1_7vsmem_tE ; -- Begin function _ZN7rocprim17ROCPRIM_304000_NS6detail35device_block_merge_mergepath_kernelINS1_37wrapped_merge_sort_block_merge_configINS0_14default_configEiN2at4cuda3cub6detail10OpaqueTypeILi2EEEEEPiSC_PSA_SD_jNS1_19radix_merge_compareILb1ELb0EiNS0_19identity_decomposerEEEEEvT0_T1_T2_T3_T4_SL_jT5_PKSL_NS1_7vsmem_tE
	.globl	_ZN7rocprim17ROCPRIM_304000_NS6detail35device_block_merge_mergepath_kernelINS1_37wrapped_merge_sort_block_merge_configINS0_14default_configEiN2at4cuda3cub6detail10OpaqueTypeILi2EEEEEPiSC_PSA_SD_jNS1_19radix_merge_compareILb1ELb0EiNS0_19identity_decomposerEEEEEvT0_T1_T2_T3_T4_SL_jT5_PKSL_NS1_7vsmem_tE
	.p2align	8
	.type	_ZN7rocprim17ROCPRIM_304000_NS6detail35device_block_merge_mergepath_kernelINS1_37wrapped_merge_sort_block_merge_configINS0_14default_configEiN2at4cuda3cub6detail10OpaqueTypeILi2EEEEEPiSC_PSA_SD_jNS1_19radix_merge_compareILb1ELb0EiNS0_19identity_decomposerEEEEEvT0_T1_T2_T3_T4_SL_jT5_PKSL_NS1_7vsmem_tE,@function
_ZN7rocprim17ROCPRIM_304000_NS6detail35device_block_merge_mergepath_kernelINS1_37wrapped_merge_sort_block_merge_configINS0_14default_configEiN2at4cuda3cub6detail10OpaqueTypeILi2EEEEEPiSC_PSA_SD_jNS1_19radix_merge_compareILb1ELb0EiNS0_19identity_decomposerEEEEEvT0_T1_T2_T3_T4_SL_jT5_PKSL_NS1_7vsmem_tE: ; @_ZN7rocprim17ROCPRIM_304000_NS6detail35device_block_merge_mergepath_kernelINS1_37wrapped_merge_sort_block_merge_configINS0_14default_configEiN2at4cuda3cub6detail10OpaqueTypeILi2EEEEEPiSC_PSA_SD_jNS1_19radix_merge_compareILb1ELb0EiNS0_19identity_decomposerEEEEEvT0_T1_T2_T3_T4_SL_jT5_PKSL_NS1_7vsmem_tE
; %bb.0:
	s_load_dwordx2 s[28:29], s[0:1], 0x40
	s_load_dwordx4 s[16:19], s[0:1], 0x20
	s_add_u32 s26, s0, 64
	s_addc_u32 s27, s1, 0
	s_waitcnt lgkmcnt(0)
	s_mul_i32 s4, s29, s4
	s_add_i32 s3, s4, s3
	s_mul_i32 s3, s3, s28
	s_add_i32 s6, s3, s2
	s_cmp_ge_u32 s6, s18
	s_cbranch_scc1 .LBB3_69
; %bb.1:
	s_load_dwordx8 s[8:15], s[0:1], 0x0
	s_load_dwordx2 s[4:5], s[0:1], 0x30
	s_lshr_b32 s30, s16, 10
	s_cmp_lg_u32 s6, s30
	s_mov_b32 s7, 0
	s_cselect_b64 s[20:21], -1, 0
	s_lshl_b64 s[0:1], s[6:7], 2
	s_waitcnt lgkmcnt(0)
	s_add_u32 s0, s4, s0
	s_addc_u32 s1, s5, s1
	s_load_dwordx2 s[22:23], s[0:1], 0x0
	s_lshr_b32 s0, s17, 9
	s_and_b32 s0, s0, 0x7ffffe
	s_sub_i32 s0, 0, s0
	s_and_b32 s1, s6, s0
	s_lshl_b32 s3, s1, 10
	s_lshl_b32 s18, s6, 10
	;; [unrolled: 1-line block ×3, first 2 shown]
	s_sub_i32 s4, s18, s3
	s_add_i32 s1, s1, s17
	s_add_i32 s4, s1, s4
	s_waitcnt lgkmcnt(0)
	s_sub_i32 s5, s4, s22
	s_sub_i32 s4, s4, s23
	;; [unrolled: 1-line block ×3, first 2 shown]
	s_min_u32 s24, s16, s5
	s_addk_i32 s4, 0x400
	s_or_b32 s0, s6, s0
	s_min_u32 s3, s16, s1
	s_add_i32 s1, s1, s17
	s_cmp_eq_u32 s0, -1
	s_cselect_b32 s0, s1, s4
	s_cselect_b32 s1, s3, s23
	s_min_u32 s0, s0, s16
	s_mov_b32 s23, s7
	s_sub_i32 s19, s1, s22
	s_sub_i32 s29, s0, s24
	s_lshl_b64 s[0:1], s[22:23], 2
	s_add_u32 s0, s8, s0
	s_mov_b32 s25, s7
	s_addc_u32 s1, s9, s1
	s_lshl_b64 s[4:5], s[24:25], 2
	s_add_u32 s4, s8, s4
	s_addc_u32 s5, s9, s5
	s_cmp_lt_u32 s2, s28
	v_mov_b32_e32 v7, 0
	s_cselect_b32 s2, 12, 18
	global_load_dword v1, v7, s[26:27] offset:14
	s_add_u32 s2, s26, s2
	s_addc_u32 s3, s27, 0
	global_load_ushort v2, v7, s[2:3]
	v_cmp_gt_u32_e32 vcc, s19, v0
	s_cmp_eq_u32 s6, s30
	v_lshlrev_b32_e32 v6, 2, v0
	s_waitcnt vmcnt(1)
	v_lshrrev_b32_e32 v3, 16, v1
	v_and_b32_e32 v1, 0xffff, v1
	v_mul_lo_u32 v1, v1, v3
	s_waitcnt vmcnt(0)
	v_mul_lo_u32 v1, v1, v2
	v_add_u32_e32 v8, v1, v0
	s_cbranch_scc1 .LBB3_3
; %bb.2:
	v_subrev_u32_e32 v4, s19, v0
	v_lshlrev_b32_e32 v4, 2, v4
	v_mov_b32_e32 v5, v7
	v_lshl_add_u64 v[2:3], s[0:1], 0, v[6:7]
	v_lshl_add_u64 v[4:5], s[4:5], 0, v[4:5]
	v_cndmask_b32_e32 v3, v5, v3, vcc
	v_cndmask_b32_e32 v2, v4, v2, vcc
	v_mov_b32_e32 v9, v7
	v_subrev_co_u32_e32 v10, vcc, s19, v8
	v_mov_b32_e32 v11, v7
	v_lshl_add_u64 v[4:5], v[8:9], 2, s[0:1]
	v_lshl_add_u64 v[10:11], v[10:11], 2, s[4:5]
	v_cndmask_b32_e32 v4, v10, v4, vcc
	v_add_u32_e32 v10, v8, v1
	v_cndmask_b32_e32 v5, v11, v5, vcc
	v_mov_b32_e32 v11, v7
	v_subrev_co_u32_e32 v12, vcc, s19, v10
	v_mov_b32_e32 v13, v7
	global_load_dword v2, v[2:3], off
	v_lshl_add_u64 v[12:13], v[12:13], 2, s[4:5]
	global_load_dword v3, v[4:5], off
	v_lshl_add_u64 v[4:5], v[10:11], 2, s[0:1]
	v_add_u32_e32 v10, v10, v1
	v_cndmask_b32_e32 v5, v13, v5, vcc
	v_cndmask_b32_e32 v4, v12, v4, vcc
	v_lshl_add_u64 v[12:13], v[10:11], 2, s[0:1]
	v_subrev_co_u32_e32 v10, vcc, s19, v10
	v_lshl_add_u64 v[10:11], v[10:11], 2, s[4:5]
	s_nop 0
	v_cndmask_b32_e32 v11, v11, v13, vcc
	v_cndmask_b32_e32 v10, v10, v12, vcc
	global_load_dword v4, v[4:5], off
	s_add_i32 s17, s29, s19
	global_load_dword v5, v[10:11], off
	s_cbranch_execz .LBB3_4
	s_branch .LBB3_13
.LBB3_3:
                                        ; implicit-def: $vgpr2_vgpr3_vgpr4_vgpr5
                                        ; implicit-def: $sgpr17
.LBB3_4:
	s_add_i32 s17, s29, s19
	s_waitcnt vmcnt(3)
	v_mov_b32_e32 v2, 0
	v_cmp_gt_u32_e32 vcc, s17, v0
	s_waitcnt vmcnt(2)
	v_mov_b32_e32 v3, v2
	s_waitcnt vmcnt(1)
	v_mov_b32_e32 v4, v2
	;; [unrolled: 2-line block ×3, first 2 shown]
	s_and_saveexec_b64 s[2:3], vcc
	s_cbranch_execz .LBB3_6
; %bb.5:
	v_subrev_u32_e32 v3, s19, v0
	v_mov_b32_e32 v7, v2
	v_lshlrev_b32_e32 v10, 2, v3
	v_mov_b32_e32 v11, v2
	v_lshl_add_u64 v[4:5], s[0:1], 0, v[6:7]
	v_lshl_add_u64 v[10:11], s[4:5], 0, v[10:11]
	v_cmp_gt_u32_e32 vcc, s19, v0
	v_mov_b32_e32 v12, v2
	v_mov_b32_e32 v13, v2
	v_cndmask_b32_e32 v5, v11, v5, vcc
	v_cndmask_b32_e32 v4, v10, v4, vcc
	global_load_dword v10, v[4:5], off
	v_mov_b32_e32 v11, v2
	s_waitcnt vmcnt(0)
	v_mov_b64_e32 v[2:3], v[10:11]
	v_mov_b64_e32 v[4:5], v[12:13]
.LBB3_6:
	s_or_b64 exec, exec, s[2:3]
	v_cmp_gt_u32_e32 vcc, s17, v8
	s_and_saveexec_b64 s[2:3], vcc
	s_cbranch_execz .LBB3_8
; %bb.7:
	v_mov_b32_e32 v9, 0
	v_subrev_co_u32_e32 v12, vcc, s19, v8
	v_mov_b32_e32 v13, v9
	v_lshl_add_u64 v[10:11], v[8:9], 2, s[0:1]
	v_lshl_add_u64 v[12:13], v[12:13], 2, s[4:5]
	v_cndmask_b32_e32 v11, v13, v11, vcc
	v_cndmask_b32_e32 v10, v12, v10, vcc
	global_load_dword v3, v[10:11], off
.LBB3_8:
	s_or_b64 exec, exec, s[2:3]
	v_add_u32_e32 v8, v8, v1
	v_cmp_gt_u32_e32 vcc, s17, v8
	s_and_saveexec_b64 s[2:3], vcc
	s_cbranch_execz .LBB3_10
; %bb.9:
	v_mov_b32_e32 v9, 0
	v_subrev_co_u32_e32 v12, vcc, s19, v8
	v_mov_b32_e32 v13, v9
	v_lshl_add_u64 v[10:11], v[8:9], 2, s[0:1]
	v_lshl_add_u64 v[12:13], v[12:13], 2, s[4:5]
	v_cndmask_b32_e32 v11, v13, v11, vcc
	v_cndmask_b32_e32 v10, v12, v10, vcc
	global_load_dword v4, v[10:11], off
.LBB3_10:
	s_or_b64 exec, exec, s[2:3]
	v_add_u32_e32 v8, v8, v1
	v_cmp_gt_u32_e32 vcc, s17, v8
	s_and_saveexec_b64 s[2:3], vcc
	s_cbranch_execz .LBB3_12
; %bb.11:
	v_mov_b32_e32 v9, 0
	v_lshl_add_u64 v[10:11], v[8:9], 2, s[0:1]
	v_subrev_co_u32_e32 v8, vcc, s19, v8
	v_lshl_add_u64 v[8:9], v[8:9], 2, s[4:5]
	s_nop 0
	v_cndmask_b32_e32 v9, v9, v11, vcc
	v_cndmask_b32_e32 v8, v8, v10, vcc
	global_load_dword v5, v[8:9], off
.LBB3_12:
	s_or_b64 exec, exec, s[2:3]
.LBB3_13:
	v_min_u32_e32 v1, s17, v6
	v_sub_u32_e64 v8, v1, s29 clamp
	v_min_u32_e32 v7, s19, v1
	v_cmp_lt_u32_e32 vcc, v8, v7
	s_waitcnt vmcnt(0)
	ds_write2st64_b32 v6, v2, v3 offset1:4
	ds_write2st64_b32 v6, v4, v5 offset0:8 offset1:12
	s_waitcnt lgkmcnt(0)
	s_barrier
	s_and_saveexec_b64 s[0:1], vcc
	s_cbranch_execz .LBB3_17
; %bb.14:
	v_lshlrev_b32_e32 v9, 2, v1
	v_lshl_add_u32 v9, s19, 2, v9
	s_mov_b64 s[2:3], 0
.LBB3_15:                               ; =>This Inner Loop Header: Depth=1
	v_add_u32_e32 v10, v7, v8
	v_lshrrev_b32_e32 v10, 1, v10
	v_not_b32_e32 v11, v10
	v_lshlrev_b32_e32 v12, 2, v10
	v_lshl_add_u32 v11, v11, 2, v9
	ds_read_b32 v12, v12
	ds_read_b32 v11, v11
	v_add_u32_e32 v13, 1, v10
	s_waitcnt lgkmcnt(0)
	v_cmp_gt_i32_e32 vcc, v11, v12
	s_nop 1
	v_cndmask_b32_e32 v7, v7, v10, vcc
	v_cndmask_b32_e32 v8, v13, v8, vcc
	v_cmp_ge_u32_e32 vcc, v8, v7
	s_or_b64 s[2:3], vcc, s[2:3]
	s_andn2_b64 exec, exec, s[2:3]
	s_cbranch_execnz .LBB3_15
; %bb.16:
	s_or_b64 exec, exec, s[2:3]
.LBB3_17:
	s_or_b64 exec, exec, s[0:1]
	v_sub_u32_e32 v1, v1, v8
	v_add_u32_e32 v9, s19, v1
	v_cmp_ge_u32_e32 vcc, s19, v8
	v_cmp_ge_u32_e64 s[0:1], s17, v9
	s_or_b64 s[0:1], vcc, s[0:1]
	v_mov_b32_e32 v1, 0
	v_mov_b32_e32 v7, 0
	;; [unrolled: 1-line block ×4, first 2 shown]
	s_and_saveexec_b64 s[8:9], s[0:1]
	s_cbranch_execz .LBB3_23
; %bb.18:
	v_cmp_gt_u32_e32 vcc, s19, v8
                                        ; implicit-def: $vgpr1
	s_and_saveexec_b64 s[0:1], vcc
; %bb.19:
	v_lshlrev_b32_e32 v1, 2, v8
	ds_read_b32 v1, v1
; %bb.20:
	s_or_b64 exec, exec, s[0:1]
	v_cmp_le_u32_e64 s[0:1], s17, v9
	v_cmp_gt_u32_e64 s[2:3], s17, v9
                                        ; implicit-def: $vgpr2
	s_and_saveexec_b64 s[4:5], s[2:3]
; %bb.21:
	v_lshlrev_b32_e32 v2, 2, v9
	ds_read_b32 v2, v2
; %bb.22:
	s_or_b64 exec, exec, s[4:5]
	s_waitcnt lgkmcnt(0)
	v_cmp_le_i32_e64 s[2:3], v2, v1
	s_and_b64 s[2:3], vcc, s[2:3]
	s_or_b64 vcc, s[0:1], s[2:3]
	v_mov_b32_e32 v3, s17
	v_mov_b32_e32 v4, s19
	v_cndmask_b32_e32 v15, v9, v8, vcc
	v_cndmask_b32_e32 v5, v3, v4, vcc
	v_add_u32_e32 v7, 1, v15
	v_add_u32_e32 v5, -1, v5
	v_min_u32_e32 v5, v7, v5
	v_lshlrev_b32_e32 v5, 2, v5
	ds_read_b32 v5, v5
	v_cndmask_b32_e32 v9, v7, v9, vcc
	v_cndmask_b32_e32 v7, v8, v7, vcc
	v_cmp_gt_u32_e64 s[2:3], s19, v7
	v_cmp_le_u32_e64 s[0:1], s17, v9
	s_waitcnt lgkmcnt(0)
	v_cndmask_b32_e32 v10, v5, v2, vcc
	v_cndmask_b32_e32 v5, v1, v5, vcc
	v_cmp_le_i32_e64 s[4:5], v10, v5
	s_and_b64 s[2:3], s[2:3], s[4:5]
	s_or_b64 s[0:1], s[0:1], s[2:3]
	v_cndmask_b32_e64 v14, v9, v7, s[0:1]
	v_cndmask_b32_e64 v8, v3, v4, s[0:1]
	v_add_u32_e32 v11, 1, v14
	v_add_u32_e32 v8, -1, v8
	v_min_u32_e32 v8, v11, v8
	v_lshlrev_b32_e32 v8, 2, v8
	ds_read_b32 v8, v8
	v_cndmask_b32_e64 v9, v11, v9, s[0:1]
	v_cndmask_b32_e64 v11, v7, v11, s[0:1]
	v_cmp_gt_u32_e64 s[4:5], s19, v11
	v_cmp_le_u32_e64 s[2:3], s17, v9
	s_waitcnt lgkmcnt(0)
	v_cndmask_b32_e64 v12, v8, v10, s[0:1]
	v_cndmask_b32_e64 v8, v5, v8, s[0:1]
	v_cmp_le_i32_e64 s[6:7], v12, v8
	s_and_b64 s[4:5], s[4:5], s[6:7]
	s_or_b64 s[2:3], s[2:3], s[4:5]
	v_cndmask_b32_e64 v7, v9, v11, s[2:3]
	v_cndmask_b32_e64 v3, v3, v4, s[2:3]
	v_add_u32_e32 v13, 1, v7
	v_add_u32_e32 v3, -1, v3
	v_min_u32_e32 v3, v13, v3
	v_lshlrev_b32_e32 v3, 2, v3
	ds_read_b32 v16, v3
	v_cndmask_b32_e32 v2, v2, v1, vcc
	v_cndmask_b32_e64 v3, v10, v5, s[0:1]
	v_cndmask_b32_e64 v4, v12, v8, s[2:3]
	;; [unrolled: 1-line block ×3, first 2 shown]
	s_waitcnt lgkmcnt(0)
	v_cndmask_b32_e64 v5, v16, v12, s[2:3]
	v_cndmask_b32_e64 v8, v8, v16, s[2:3]
	v_cndmask_b32_e64 v9, v11, v13, s[2:3]
	v_cmp_gt_u32_e64 s[0:1], s19, v9
	v_cmp_le_i32_e64 s[2:3], v5, v8
	v_cmp_le_u32_e32 vcc, s17, v1
	s_and_b64 s[0:1], s[0:1], s[2:3]
	s_or_b64 vcc, vcc, s[0:1]
	v_cndmask_b32_e32 v1, v1, v9, vcc
	v_cndmask_b32_e32 v5, v5, v8, vcc
.LBB3_23:
	s_or_b64 exec, exec, s[8:9]
	s_lshl_b64 s[0:1], s[22:23], 1
	s_add_u32 s8, s12, s0
	s_addc_u32 s9, s13, s1
	s_lshl_b64 s[0:1], s[24:25], 1
	s_add_u32 s6, s12, s0
	v_cndmask_b32_e64 v8, 0, 1, s[20:21]
	v_mov_b32_e32 v9, 0
	s_addc_u32 s7, s13, s1
	v_cmp_gt_u32_e64 s[4:5], s19, v0
	v_cmp_le_u32_e64 s[2:3], s19, v0
	v_cmp_ne_u32_e64 s[0:1], 1, v8
	s_andn2_b64 vcc, exec, s[20:21]
	v_lshlrev_b32_e32 v8, 1, v0
	s_barrier
	s_cbranch_vccnz .LBB3_25
; %bb.24:
	v_subrev_u32_e32 v12, s19, v0
	v_lshlrev_b32_e32 v12, 1, v12
	v_mov_b32_e32 v13, v9
	v_lshl_add_u64 v[10:11], s[8:9], 0, v[8:9]
	v_lshl_add_u64 v[12:13], s[6:7], 0, v[12:13]
	v_cndmask_b32_e64 v11, v13, v11, s[4:5]
	v_cndmask_b32_e64 v10, v12, v10, s[4:5]
	global_load_ushort v16, v[10:11], off
	v_or_b32_e32 v10, 0x100, v0
	v_subrev_u32_e32 v11, s19, v10
	v_min_u32_e32 v12, v10, v11
	v_mov_b32_e32 v17, s7
	v_mov_b32_e32 v18, s9
	v_cmp_gt_u32_e32 vcc, s19, v10
	v_mov_b32_e32 v19, s6
	v_mov_b32_e32 v20, s8
	v_cndmask_b32_e32 v11, v17, v18, vcc
	v_cndmask_b32_e32 v10, v19, v20, vcc
	v_lshlrev_b32_e32 v12, 1, v12
	v_mov_b32_e32 v13, v9
	v_lshl_add_u64 v[10:11], v[10:11], 0, v[12:13]
	global_load_ushort v21, v[10:11], off
	v_or_b32_e32 v10, 0x200, v0
	v_subrev_u32_e32 v11, s19, v10
	v_min_u32_e32 v12, v10, v11
	v_cmp_gt_u32_e32 vcc, s19, v10
	v_lshlrev_b32_e32 v12, 1, v12
	v_or_b32_e32 v9, 0x300, v0
	v_cndmask_b32_e32 v11, v17, v18, vcc
	v_cndmask_b32_e32 v10, v19, v20, vcc
	v_lshl_add_u64 v[10:11], v[10:11], 0, v[12:13]
	global_load_ushort v13, v[10:11], off
	v_subrev_u32_e32 v10, s19, v9
	v_cmp_gt_u32_e32 vcc, s19, v9
	v_min_u32_e32 v12, v9, v10
	s_nop 0
	v_cndmask_b32_e32 v11, v17, v18, vcc
	v_cndmask_b32_e32 v10, v19, v20, vcc
	s_mov_b64 s[4:5], -1
	s_waitcnt vmcnt(2)
	ds_write_b16 v8, v16
	s_waitcnt vmcnt(1)
	ds_write_b16 v8, v21 offset:512
	s_waitcnt vmcnt(0)
	ds_write_b16 v8, v13 offset:1024
	s_cbranch_execz .LBB3_26
	s_branch .LBB3_43
.LBB3_25:
	s_mov_b64 s[4:5], 0
                                        ; implicit-def: $vgpr9
                                        ; implicit-def: $vgpr10_vgpr11
                                        ; implicit-def: $vgpr12
.LBB3_26:
	s_and_saveexec_b64 s[4:5], s[2:3]
	s_xor_b64 s[2:3], exec, s[4:5]
	s_cbranch_execz .LBB3_30
; %bb.27:
	v_subrev_u32_e32 v9, s19, v0
	v_cmp_gt_u32_e32 vcc, s29, v9
	s_and_saveexec_b64 s[4:5], vcc
	s_cbranch_execz .LBB3_29
; %bb.28:
	v_lshlrev_b32_e32 v9, 1, v9
	global_load_ushort v9, v9, s[6:7]
	v_sub_u32_e32 v10, v6, v8
	s_waitcnt vmcnt(0)
	ds_write_b16 v10, v9
.LBB3_29:
	s_or_b64 exec, exec, s[4:5]
.LBB3_30:
	s_andn2_saveexec_b64 s[2:3], s[2:3]
	s_cbranch_execz .LBB3_32
; %bb.31:
	global_load_ushort v9, v8, s[8:9]
	v_sub_u32_e32 v10, v6, v8
	s_waitcnt vmcnt(0)
	ds_write_b16 v10, v9
.LBB3_32:
	s_or_b64 exec, exec, s[2:3]
	v_or_b32_e32 v9, 0x100, v0
	v_cmp_le_u32_e32 vcc, s19, v9
	s_mov_b64 s[2:3], -1
	v_mov_b64_e32 v[10:11], s[22:23]
	s_and_saveexec_b64 s[4:5], vcc
; %bb.33:
	v_subrev_u32_e32 v9, s19, v9
	v_cmp_gt_u32_e32 vcc, s29, v9
	v_mov_b64_e32 v[10:11], s[24:25]
	s_orn2_b64 s[2:3], vcc, exec
; %bb.34:
	s_or_b64 exec, exec, s[4:5]
	s_and_saveexec_b64 s[4:5], s[2:3]
	s_cbranch_execz .LBB3_36
; %bb.35:
	v_lshl_add_u64 v[10:11], v[10:11], 1, s[12:13]
	v_lshlrev_b32_e32 v12, 1, v9
	v_mov_b32_e32 v13, 0
	v_lshl_add_u64 v[10:11], v[10:11], 0, v[12:13]
	global_load_ushort v9, v[10:11], off
	v_sub_u32_e32 v10, v6, v8
	s_waitcnt vmcnt(0)
	ds_write_b16 v10, v9 offset:512
.LBB3_36:
	s_or_b64 exec, exec, s[4:5]
	v_or_b32_e32 v9, 0x200, v0
	v_cmp_le_u32_e32 vcc, s19, v9
	s_mov_b64 s[2:3], -1
	v_mov_b64_e32 v[10:11], s[22:23]
	s_and_saveexec_b64 s[4:5], vcc
; %bb.37:
	v_subrev_u32_e32 v9, s19, v9
	v_cmp_gt_u32_e32 vcc, s29, v9
	v_mov_b64_e32 v[10:11], s[24:25]
	s_orn2_b64 s[2:3], vcc, exec
; %bb.38:
	s_or_b64 exec, exec, s[4:5]
	s_and_saveexec_b64 s[4:5], s[2:3]
	s_cbranch_execz .LBB3_40
; %bb.39:
	v_lshl_add_u64 v[10:11], v[10:11], 1, s[12:13]
	v_lshlrev_b32_e32 v12, 1, v9
	v_mov_b32_e32 v13, 0
	v_lshl_add_u64 v[10:11], v[10:11], 0, v[12:13]
	global_load_ushort v9, v[10:11], off
	v_sub_u32_e32 v8, v6, v8
	s_waitcnt vmcnt(0)
	ds_write_b16 v8, v9 offset:1024
.LBB3_40:
	s_or_b64 exec, exec, s[4:5]
	v_or_b32_e32 v9, 0x300, v0
	v_cmp_le_u32_e32 vcc, s19, v9
	s_mov_b64 s[4:5], -1
	v_mov_b64_e32 v[10:11], s[8:9]
	v_mov_b32_e32 v12, v9
	s_and_saveexec_b64 s[2:3], vcc
; %bb.41:
	v_subrev_u32_e32 v12, s19, v9
	v_cmp_gt_u32_e32 vcc, s29, v12
	v_mov_b64_e32 v[10:11], s[6:7]
	s_orn2_b64 s[4:5], vcc, exec
; %bb.42:
	s_or_b64 exec, exec, s[2:3]
.LBB3_43:
	s_and_saveexec_b64 s[2:3], s[4:5]
	s_cbranch_execz .LBB3_45
; %bb.44:
	v_mov_b32_e32 v13, 0
	v_lshl_add_u64 v[10:11], v[12:13], 1, v[10:11]
	global_load_ushort v8, v[10:11], off
	v_lshlrev_b32_e32 v9, 1, v9
	s_waitcnt vmcnt(0)
	ds_write_b16 v9, v8
.LBB3_45:
	s_or_b64 exec, exec, s[2:3]
	s_and_b64 vcc, exec, s[0:1]
	v_add_u32_e32 v8, s18, v6
	s_waitcnt lgkmcnt(0)
	s_barrier
	s_cbranch_vccnz .LBB3_47
; %bb.46:
	v_lshlrev_b32_e32 v9, 1, v15
	v_lshlrev_b32_e32 v10, 1, v14
	;; [unrolled: 1-line block ×3, first 2 shown]
	ds_read_u16 v12, v9
	ds_read_u16 v13, v10
	;; [unrolled: 1-line block ×3, first 2 shown]
	v_mov_b32_e32 v9, 0
	s_mov_b32 s0, 0x5040100
	v_lshl_add_u64 v[10:11], v[8:9], 1, s[14:15]
	s_waitcnt lgkmcnt(1)
	v_perm_b32 v12, v13, v12, s0
	s_mov_b64 s[0:1], -1
	s_waitcnt lgkmcnt(0)
	global_store_short v[10:11], v16, off offset:4
	global_store_dword v[10:11], v12, off
	s_cbranch_execz .LBB3_48
	s_branch .LBB3_57
.LBB3_47:
	s_mov_b64 s[0:1], 0
.LBB3_48:
	v_cmp_gt_u32_e32 vcc, s17, v6
	s_and_saveexec_b64 s[2:3], vcc
	s_cbranch_execz .LBB3_50
; %bb.49:
	v_lshlrev_b32_e32 v9, 1, v15
	ds_read_u16 v12, v9
	v_mov_b32_e32 v9, 0
	v_lshl_add_u64 v[10:11], v[8:9], 1, s[14:15]
	s_waitcnt lgkmcnt(0)
	global_store_short v[10:11], v12, off
.LBB3_50:
	s_or_b64 exec, exec, s[2:3]
	v_or_b32_e32 v9, 1, v6
	v_cmp_gt_u32_e32 vcc, s17, v9
	s_and_saveexec_b64 s[2:3], vcc
	s_cbranch_execz .LBB3_52
; %bb.51:
	v_lshlrev_b32_e32 v9, 1, v14
	ds_read_u16 v12, v9
	v_mov_b32_e32 v9, 0
	v_lshl_add_u64 v[10:11], v[8:9], 1, s[14:15]
	s_waitcnt lgkmcnt(0)
	global_store_short v[10:11], v12, off offset:2
.LBB3_52:
	s_or_b64 exec, exec, s[2:3]
	v_or_b32_e32 v9, 2, v6
	v_cmp_gt_u32_e32 vcc, s17, v9
	s_and_saveexec_b64 s[2:3], vcc
	s_cbranch_execz .LBB3_54
; %bb.53:
	v_lshlrev_b32_e32 v7, 1, v7
	ds_read_u16 v7, v7
	v_mov_b32_e32 v9, 0
	v_lshl_add_u64 v[10:11], v[8:9], 1, s[14:15]
	s_waitcnt lgkmcnt(0)
	global_store_short v[10:11], v7, off offset:4
.LBB3_54:
	s_or_b64 exec, exec, s[2:3]
	v_or_b32_e32 v7, 3, v6
	v_cmp_gt_u32_e32 vcc, s17, v7
	s_and_saveexec_b64 s[2:3], vcc
; %bb.55:
	v_mov_b32_e32 v9, 0
	s_or_b64 s[0:1], s[0:1], exec
; %bb.56:
	s_or_b64 exec, exec, s[2:3]
.LBB3_57:
	s_and_saveexec_b64 s[2:3], s[0:1]
	s_cbranch_execz .LBB3_59
; %bb.58:
	v_lshlrev_b32_e32 v1, 1, v1
	ds_read_u16 v1, v1
	v_lshl_add_u64 v[8:9], v[8:9], 1, s[14:15]
	s_waitcnt lgkmcnt(0)
	global_store_short v[8:9], v1, off offset:6
.LBB3_59:
	s_or_b64 exec, exec, s[2:3]
	v_lshrrev_b32_e32 v1, 3, v0
	v_lshlrev_b32_e32 v7, 2, v6
	v_lshl_add_u32 v7, v1, 2, v7
	s_barrier
	s_barrier
	ds_write2_b32 v7, v2, v3 offset1:1
	ds_write2_b32 v7, v4, v5 offset0:2 offset1:3
	v_and_b32_e32 v1, 28, v1
	v_or_b32_e32 v5, 0x100, v0
	v_add_u32_e32 v8, v1, v6
	v_lshrrev_b32_e32 v1, 3, v5
	v_and_b32_e32 v1, 60, v1
	v_or_b32_e32 v4, 0x200, v0
	v_add_u32_e32 v9, v1, v6
	v_lshrrev_b32_e32 v1, 3, v4
	s_mov_b32 s19, 0
	v_and_b32_e32 v1, 0x5c, v1
	s_lshl_b64 s[0:1], s[18:19], 2
	v_add_u32_e32 v10, v1, v6
	v_or_b32_e32 v1, 0x300, v0
	s_add_u32 s0, s10, s0
	v_lshrrev_b32_e32 v2, 3, v1
	s_addc_u32 s1, s11, s1
	v_and_b32_e32 v2, 0x7c, v2
	v_mov_b32_e32 v7, 0
	v_add_u32_e32 v11, v2, v6
	v_lshl_add_u64 v[2:3], s[0:1], 0, v[6:7]
	s_and_b64 vcc, exec, s[20:21]
	s_waitcnt lgkmcnt(0)
	s_cbranch_vccz .LBB3_61
; %bb.60:
	s_barrier
	ds_read_b32 v6, v8
	ds_read_b32 v7, v9 offset:1024
	ds_read_b32 v13, v10 offset:2048
	;; [unrolled: 1-line block ×3, first 2 shown]
	s_waitcnt lgkmcnt(3)
	global_store_dword v[2:3], v6, off
	s_waitcnt lgkmcnt(2)
	global_store_dword v[2:3], v7, off offset:1024
	s_waitcnt lgkmcnt(1)
	global_store_dword v[2:3], v13, off offset:2048
	s_mov_b64 s[0:1], -1
	s_cbranch_execz .LBB3_62
	s_branch .LBB3_67
.LBB3_61:
	s_mov_b64 s[0:1], 0
                                        ; implicit-def: $vgpr12
.LBB3_62:
	s_barrier
	s_waitcnt lgkmcnt(0)
	ds_read_b32 v7, v9 offset:1024
	ds_read_b32 v6, v10 offset:2048
	;; [unrolled: 1-line block ×3, first 2 shown]
	s_sub_i32 s2, s16, s18
	v_cmp_gt_u32_e32 vcc, s2, v0
	s_and_saveexec_b64 s[0:1], vcc
	s_cbranch_execnz .LBB3_70
; %bb.63:
	s_or_b64 exec, exec, s[0:1]
	v_cmp_gt_u32_e32 vcc, s2, v5
	s_and_saveexec_b64 s[0:1], vcc
	s_cbranch_execnz .LBB3_71
.LBB3_64:
	s_or_b64 exec, exec, s[0:1]
	v_cmp_gt_u32_e32 vcc, s2, v4
	s_and_saveexec_b64 s[0:1], vcc
	s_cbranch_execz .LBB3_66
.LBB3_65:
	s_waitcnt lgkmcnt(1)
	global_store_dword v[2:3], v6, off offset:2048
.LBB3_66:
	s_or_b64 exec, exec, s[0:1]
	v_cmp_gt_u32_e64 s[0:1], s2, v1
.LBB3_67:
	s_and_saveexec_b64 s[2:3], s[0:1]
	s_cbranch_execz .LBB3_69
; %bb.68:
	s_waitcnt lgkmcnt(0)
	global_store_dword v[2:3], v12, off offset:3072
.LBB3_69:
	s_endpgm
.LBB3_70:
	ds_read_b32 v0, v8
	s_waitcnt lgkmcnt(0)
	global_store_dword v[2:3], v0, off
	s_or_b64 exec, exec, s[0:1]
	v_cmp_gt_u32_e32 vcc, s2, v5
	s_and_saveexec_b64 s[0:1], vcc
	s_cbranch_execz .LBB3_64
.LBB3_71:
	s_waitcnt lgkmcnt(2)
	global_store_dword v[2:3], v7, off offset:1024
	s_or_b64 exec, exec, s[0:1]
	v_cmp_gt_u32_e32 vcc, s2, v4
	s_and_saveexec_b64 s[0:1], vcc
	s_cbranch_execnz .LBB3_65
	s_branch .LBB3_66
	.section	.rodata,"a",@progbits
	.p2align	6, 0x0
	.amdhsa_kernel _ZN7rocprim17ROCPRIM_304000_NS6detail35device_block_merge_mergepath_kernelINS1_37wrapped_merge_sort_block_merge_configINS0_14default_configEiN2at4cuda3cub6detail10OpaqueTypeILi2EEEEEPiSC_PSA_SD_jNS1_19radix_merge_compareILb1ELb0EiNS0_19identity_decomposerEEEEEvT0_T1_T2_T3_T4_SL_jT5_PKSL_NS1_7vsmem_tE
		.amdhsa_group_segment_fixed_size 4224
		.amdhsa_private_segment_fixed_size 0
		.amdhsa_kernarg_size 320
		.amdhsa_user_sgpr_count 2
		.amdhsa_user_sgpr_dispatch_ptr 0
		.amdhsa_user_sgpr_queue_ptr 0
		.amdhsa_user_sgpr_kernarg_segment_ptr 1
		.amdhsa_user_sgpr_dispatch_id 0
		.amdhsa_user_sgpr_kernarg_preload_length 0
		.amdhsa_user_sgpr_kernarg_preload_offset 0
		.amdhsa_user_sgpr_private_segment_size 0
		.amdhsa_uses_dynamic_stack 0
		.amdhsa_enable_private_segment 0
		.amdhsa_system_sgpr_workgroup_id_x 1
		.amdhsa_system_sgpr_workgroup_id_y 1
		.amdhsa_system_sgpr_workgroup_id_z 1
		.amdhsa_system_sgpr_workgroup_info 0
		.amdhsa_system_vgpr_workitem_id 0
		.amdhsa_next_free_vgpr 22
		.amdhsa_next_free_sgpr 31
		.amdhsa_accum_offset 24
		.amdhsa_reserve_vcc 1
		.amdhsa_float_round_mode_32 0
		.amdhsa_float_round_mode_16_64 0
		.amdhsa_float_denorm_mode_32 3
		.amdhsa_float_denorm_mode_16_64 3
		.amdhsa_dx10_clamp 1
		.amdhsa_ieee_mode 1
		.amdhsa_fp16_overflow 0
		.amdhsa_tg_split 0
		.amdhsa_exception_fp_ieee_invalid_op 0
		.amdhsa_exception_fp_denorm_src 0
		.amdhsa_exception_fp_ieee_div_zero 0
		.amdhsa_exception_fp_ieee_overflow 0
		.amdhsa_exception_fp_ieee_underflow 0
		.amdhsa_exception_fp_ieee_inexact 0
		.amdhsa_exception_int_div_zero 0
	.end_amdhsa_kernel
	.section	.text._ZN7rocprim17ROCPRIM_304000_NS6detail35device_block_merge_mergepath_kernelINS1_37wrapped_merge_sort_block_merge_configINS0_14default_configEiN2at4cuda3cub6detail10OpaqueTypeILi2EEEEEPiSC_PSA_SD_jNS1_19radix_merge_compareILb1ELb0EiNS0_19identity_decomposerEEEEEvT0_T1_T2_T3_T4_SL_jT5_PKSL_NS1_7vsmem_tE,"axG",@progbits,_ZN7rocprim17ROCPRIM_304000_NS6detail35device_block_merge_mergepath_kernelINS1_37wrapped_merge_sort_block_merge_configINS0_14default_configEiN2at4cuda3cub6detail10OpaqueTypeILi2EEEEEPiSC_PSA_SD_jNS1_19radix_merge_compareILb1ELb0EiNS0_19identity_decomposerEEEEEvT0_T1_T2_T3_T4_SL_jT5_PKSL_NS1_7vsmem_tE,comdat
.Lfunc_end3:
	.size	_ZN7rocprim17ROCPRIM_304000_NS6detail35device_block_merge_mergepath_kernelINS1_37wrapped_merge_sort_block_merge_configINS0_14default_configEiN2at4cuda3cub6detail10OpaqueTypeILi2EEEEEPiSC_PSA_SD_jNS1_19radix_merge_compareILb1ELb0EiNS0_19identity_decomposerEEEEEvT0_T1_T2_T3_T4_SL_jT5_PKSL_NS1_7vsmem_tE, .Lfunc_end3-_ZN7rocprim17ROCPRIM_304000_NS6detail35device_block_merge_mergepath_kernelINS1_37wrapped_merge_sort_block_merge_configINS0_14default_configEiN2at4cuda3cub6detail10OpaqueTypeILi2EEEEEPiSC_PSA_SD_jNS1_19radix_merge_compareILb1ELb0EiNS0_19identity_decomposerEEEEEvT0_T1_T2_T3_T4_SL_jT5_PKSL_NS1_7vsmem_tE
                                        ; -- End function
	.set _ZN7rocprim17ROCPRIM_304000_NS6detail35device_block_merge_mergepath_kernelINS1_37wrapped_merge_sort_block_merge_configINS0_14default_configEiN2at4cuda3cub6detail10OpaqueTypeILi2EEEEEPiSC_PSA_SD_jNS1_19radix_merge_compareILb1ELb0EiNS0_19identity_decomposerEEEEEvT0_T1_T2_T3_T4_SL_jT5_PKSL_NS1_7vsmem_tE.num_vgpr, 22
	.set _ZN7rocprim17ROCPRIM_304000_NS6detail35device_block_merge_mergepath_kernelINS1_37wrapped_merge_sort_block_merge_configINS0_14default_configEiN2at4cuda3cub6detail10OpaqueTypeILi2EEEEEPiSC_PSA_SD_jNS1_19radix_merge_compareILb1ELb0EiNS0_19identity_decomposerEEEEEvT0_T1_T2_T3_T4_SL_jT5_PKSL_NS1_7vsmem_tE.num_agpr, 0
	.set _ZN7rocprim17ROCPRIM_304000_NS6detail35device_block_merge_mergepath_kernelINS1_37wrapped_merge_sort_block_merge_configINS0_14default_configEiN2at4cuda3cub6detail10OpaqueTypeILi2EEEEEPiSC_PSA_SD_jNS1_19radix_merge_compareILb1ELb0EiNS0_19identity_decomposerEEEEEvT0_T1_T2_T3_T4_SL_jT5_PKSL_NS1_7vsmem_tE.numbered_sgpr, 31
	.set _ZN7rocprim17ROCPRIM_304000_NS6detail35device_block_merge_mergepath_kernelINS1_37wrapped_merge_sort_block_merge_configINS0_14default_configEiN2at4cuda3cub6detail10OpaqueTypeILi2EEEEEPiSC_PSA_SD_jNS1_19radix_merge_compareILb1ELb0EiNS0_19identity_decomposerEEEEEvT0_T1_T2_T3_T4_SL_jT5_PKSL_NS1_7vsmem_tE.num_named_barrier, 0
	.set _ZN7rocprim17ROCPRIM_304000_NS6detail35device_block_merge_mergepath_kernelINS1_37wrapped_merge_sort_block_merge_configINS0_14default_configEiN2at4cuda3cub6detail10OpaqueTypeILi2EEEEEPiSC_PSA_SD_jNS1_19radix_merge_compareILb1ELb0EiNS0_19identity_decomposerEEEEEvT0_T1_T2_T3_T4_SL_jT5_PKSL_NS1_7vsmem_tE.private_seg_size, 0
	.set _ZN7rocprim17ROCPRIM_304000_NS6detail35device_block_merge_mergepath_kernelINS1_37wrapped_merge_sort_block_merge_configINS0_14default_configEiN2at4cuda3cub6detail10OpaqueTypeILi2EEEEEPiSC_PSA_SD_jNS1_19radix_merge_compareILb1ELb0EiNS0_19identity_decomposerEEEEEvT0_T1_T2_T3_T4_SL_jT5_PKSL_NS1_7vsmem_tE.uses_vcc, 1
	.set _ZN7rocprim17ROCPRIM_304000_NS6detail35device_block_merge_mergepath_kernelINS1_37wrapped_merge_sort_block_merge_configINS0_14default_configEiN2at4cuda3cub6detail10OpaqueTypeILi2EEEEEPiSC_PSA_SD_jNS1_19radix_merge_compareILb1ELb0EiNS0_19identity_decomposerEEEEEvT0_T1_T2_T3_T4_SL_jT5_PKSL_NS1_7vsmem_tE.uses_flat_scratch, 0
	.set _ZN7rocprim17ROCPRIM_304000_NS6detail35device_block_merge_mergepath_kernelINS1_37wrapped_merge_sort_block_merge_configINS0_14default_configEiN2at4cuda3cub6detail10OpaqueTypeILi2EEEEEPiSC_PSA_SD_jNS1_19radix_merge_compareILb1ELb0EiNS0_19identity_decomposerEEEEEvT0_T1_T2_T3_T4_SL_jT5_PKSL_NS1_7vsmem_tE.has_dyn_sized_stack, 0
	.set _ZN7rocprim17ROCPRIM_304000_NS6detail35device_block_merge_mergepath_kernelINS1_37wrapped_merge_sort_block_merge_configINS0_14default_configEiN2at4cuda3cub6detail10OpaqueTypeILi2EEEEEPiSC_PSA_SD_jNS1_19radix_merge_compareILb1ELb0EiNS0_19identity_decomposerEEEEEvT0_T1_T2_T3_T4_SL_jT5_PKSL_NS1_7vsmem_tE.has_recursion, 0
	.set _ZN7rocprim17ROCPRIM_304000_NS6detail35device_block_merge_mergepath_kernelINS1_37wrapped_merge_sort_block_merge_configINS0_14default_configEiN2at4cuda3cub6detail10OpaqueTypeILi2EEEEEPiSC_PSA_SD_jNS1_19radix_merge_compareILb1ELb0EiNS0_19identity_decomposerEEEEEvT0_T1_T2_T3_T4_SL_jT5_PKSL_NS1_7vsmem_tE.has_indirect_call, 0
	.section	.AMDGPU.csdata,"",@progbits
; Kernel info:
; codeLenInByte = 2992
; TotalNumSgprs: 37
; NumVgprs: 22
; NumAgprs: 0
; TotalNumVgprs: 22
; ScratchSize: 0
; MemoryBound: 0
; FloatMode: 240
; IeeeMode: 1
; LDSByteSize: 4224 bytes/workgroup (compile time only)
; SGPRBlocks: 4
; VGPRBlocks: 2
; NumSGPRsForWavesPerEU: 37
; NumVGPRsForWavesPerEU: 22
; AccumOffset: 24
; Occupancy: 8
; WaveLimiterHint : 1
; COMPUTE_PGM_RSRC2:SCRATCH_EN: 0
; COMPUTE_PGM_RSRC2:USER_SGPR: 2
; COMPUTE_PGM_RSRC2:TRAP_HANDLER: 0
; COMPUTE_PGM_RSRC2:TGID_X_EN: 1
; COMPUTE_PGM_RSRC2:TGID_Y_EN: 1
; COMPUTE_PGM_RSRC2:TGID_Z_EN: 1
; COMPUTE_PGM_RSRC2:TIDIG_COMP_CNT: 0
; COMPUTE_PGM_RSRC3_GFX90A:ACCUM_OFFSET: 5
; COMPUTE_PGM_RSRC3_GFX90A:TG_SPLIT: 0
	.section	.text._ZN7rocprim17ROCPRIM_304000_NS6detail33device_block_merge_oddeven_kernelINS1_37wrapped_merge_sort_block_merge_configINS0_14default_configEiN2at4cuda3cub6detail10OpaqueTypeILi2EEEEEPiSC_PSA_SD_jNS1_19radix_merge_compareILb1ELb0EiNS0_19identity_decomposerEEEEEvT0_T1_T2_T3_T4_SL_T5_,"axG",@progbits,_ZN7rocprim17ROCPRIM_304000_NS6detail33device_block_merge_oddeven_kernelINS1_37wrapped_merge_sort_block_merge_configINS0_14default_configEiN2at4cuda3cub6detail10OpaqueTypeILi2EEEEEPiSC_PSA_SD_jNS1_19radix_merge_compareILb1ELb0EiNS0_19identity_decomposerEEEEEvT0_T1_T2_T3_T4_SL_T5_,comdat
	.protected	_ZN7rocprim17ROCPRIM_304000_NS6detail33device_block_merge_oddeven_kernelINS1_37wrapped_merge_sort_block_merge_configINS0_14default_configEiN2at4cuda3cub6detail10OpaqueTypeILi2EEEEEPiSC_PSA_SD_jNS1_19radix_merge_compareILb1ELb0EiNS0_19identity_decomposerEEEEEvT0_T1_T2_T3_T4_SL_T5_ ; -- Begin function _ZN7rocprim17ROCPRIM_304000_NS6detail33device_block_merge_oddeven_kernelINS1_37wrapped_merge_sort_block_merge_configINS0_14default_configEiN2at4cuda3cub6detail10OpaqueTypeILi2EEEEEPiSC_PSA_SD_jNS1_19radix_merge_compareILb1ELb0EiNS0_19identity_decomposerEEEEEvT0_T1_T2_T3_T4_SL_T5_
	.globl	_ZN7rocprim17ROCPRIM_304000_NS6detail33device_block_merge_oddeven_kernelINS1_37wrapped_merge_sort_block_merge_configINS0_14default_configEiN2at4cuda3cub6detail10OpaqueTypeILi2EEEEEPiSC_PSA_SD_jNS1_19radix_merge_compareILb1ELb0EiNS0_19identity_decomposerEEEEEvT0_T1_T2_T3_T4_SL_T5_
	.p2align	8
	.type	_ZN7rocprim17ROCPRIM_304000_NS6detail33device_block_merge_oddeven_kernelINS1_37wrapped_merge_sort_block_merge_configINS0_14default_configEiN2at4cuda3cub6detail10OpaqueTypeILi2EEEEEPiSC_PSA_SD_jNS1_19radix_merge_compareILb1ELb0EiNS0_19identity_decomposerEEEEEvT0_T1_T2_T3_T4_SL_T5_,@function
_ZN7rocprim17ROCPRIM_304000_NS6detail33device_block_merge_oddeven_kernelINS1_37wrapped_merge_sort_block_merge_configINS0_14default_configEiN2at4cuda3cub6detail10OpaqueTypeILi2EEEEEPiSC_PSA_SD_jNS1_19radix_merge_compareILb1ELb0EiNS0_19identity_decomposerEEEEEvT0_T1_T2_T3_T4_SL_T5_: ; @_ZN7rocprim17ROCPRIM_304000_NS6detail33device_block_merge_oddeven_kernelINS1_37wrapped_merge_sort_block_merge_configINS0_14default_configEiN2at4cuda3cub6detail10OpaqueTypeILi2EEEEEPiSC_PSA_SD_jNS1_19radix_merge_compareILb1ELb0EiNS0_19identity_decomposerEEEEEvT0_T1_T2_T3_T4_SL_T5_
; %bb.0:
	s_load_dwordx2 s[16:17], s[0:1], 0x20
	s_waitcnt lgkmcnt(0)
	s_lshr_b32 s3, s16, 8
	s_cmp_eq_u32 s2, s3
	s_cselect_b64 s[6:7], -1, 0
	s_cmp_lg_u32 s2, s3
	s_cselect_b64 s[8:9], -1, 0
	s_lshl_b32 s18, s2, 8
	s_sub_i32 s3, s16, s18
	v_cmp_gt_u32_e64 s[4:5], s3, v0
	s_or_b64 s[8:9], s[8:9], s[4:5]
	s_and_saveexec_b64 s[10:11], s[8:9]
	s_cbranch_execz .LBB4_24
; %bb.1:
	s_load_dwordx8 s[8:15], s[0:1], 0x0
	s_mov_b32 s19, 0
	s_lshl_b64 s[0:1], s[18:19], 2
	v_lshlrev_b32_e32 v4, 1, v0
	v_lshlrev_b32_e32 v1, 2, v0
	s_waitcnt lgkmcnt(0)
	s_add_u32 s0, s8, s0
	s_addc_u32 s1, s9, s1
	s_lshl_b64 s[20:21], s[18:19], 1
	s_add_u32 s12, s12, s20
	s_addc_u32 s13, s13, s21
	global_load_ushort v2, v4, s[12:13]
	global_load_dword v3, v1, s[0:1]
	s_lshr_b32 s0, s17, 8
	s_sub_i32 s1, 0, s0
	s_and_b32 s1, s2, s1
	s_and_b32 s0, s1, s0
	s_lshl_b32 s19, s1, 8
	s_sub_i32 s12, 0, s17
	s_cmp_eq_u32 s0, 0
	s_cselect_b64 s[0:1], -1, 0
	s_and_b64 s[2:3], s[0:1], exec
	s_cselect_b32 s12, s17, s12
	s_add_i32 s12, s12, s19
	s_mov_b64 s[2:3], -1
	s_cmp_gt_u32 s16, s12
	v_add_u32_e32 v0, s18, v0
	s_cbranch_scc1 .LBB4_9
; %bb.2:
	s_and_b64 vcc, exec, s[6:7]
	s_cbranch_vccz .LBB4_6
; %bb.3:
	v_cmp_gt_u32_e32 vcc, s16, v0
	s_and_saveexec_b64 s[2:3], vcc
	s_cbranch_execz .LBB4_5
; %bb.4:
	v_mov_b32_e32 v1, 0
	v_lshl_add_u64 v[6:7], v[0:1], 2, s[10:11]
	v_lshl_add_u64 v[4:5], v[0:1], 1, s[14:15]
	s_waitcnt vmcnt(0)
	global_store_dword v[6:7], v3, off
	global_store_short v[4:5], v2, off
.LBB4_5:
	s_or_b64 exec, exec, s[2:3]
	s_mov_b64 s[2:3], 0
.LBB4_6:
	s_andn2_b64 vcc, exec, s[2:3]
	s_cbranch_vccnz .LBB4_8
; %bb.7:
	v_mov_b32_e32 v1, 0
	v_lshl_add_u64 v[4:5], v[0:1], 2, s[10:11]
	v_lshl_add_u64 v[6:7], v[0:1], 1, s[14:15]
	s_waitcnt vmcnt(0)
	global_store_dword v[4:5], v3, off
	global_store_short v[6:7], v2, off
.LBB4_8:
	s_mov_b64 s[2:3], 0
.LBB4_9:
	s_andn2_b64 vcc, exec, s[2:3]
	s_cbranch_vccnz .LBB4_24
; %bb.10:
	s_min_u32 s13, s12, s16
	s_add_i32 s2, s13, s17
	s_min_u32 s16, s2, s16
	s_min_u32 s2, s19, s13
	s_add_i32 s19, s19, s13
	v_subrev_u32_e32 v0, s19, v0
	v_add_u32_e32 v4, s2, v0
	s_andn2_b64 vcc, exec, s[6:7]
	s_mov_b64 s[2:3], -1
	s_cbranch_vccnz .LBB4_18
; %bb.11:
	s_and_saveexec_b64 s[2:3], s[4:5]
	s_cbranch_execz .LBB4_17
; %bb.12:
	s_cmp_ge_u32 s12, s16
	v_mov_b32_e32 v5, s13
	s_cbranch_scc1 .LBB4_16
; %bb.13:
	s_mov_b64 s[4:5], 0
	v_mov_b32_e32 v6, s16
	v_mov_b32_e32 v5, s13
	;; [unrolled: 1-line block ×3, first 2 shown]
.LBB4_14:                               ; =>This Inner Loop Header: Depth=1
	v_add_u32_e32 v0, v5, v6
	v_lshrrev_b32_e32 v0, 1, v0
	v_lshl_add_u64 v[8:9], v[0:1], 2, s[8:9]
	global_load_dword v7, v[8:9], off
	v_add_u32_e32 v8, 1, v0
	s_waitcnt vmcnt(0)
	v_cmp_gt_i32_e32 vcc, v7, v3
	s_nop 1
	v_cndmask_b32_e64 v9, 0, 1, vcc
	v_cmp_le_i32_e32 vcc, v3, v7
	s_nop 1
	v_cndmask_b32_e64 v7, 0, 1, vcc
	v_cndmask_b32_e64 v7, v7, v9, s[0:1]
	v_and_b32_e32 v7, 1, v7
	v_cmp_eq_u32_e32 vcc, 1, v7
	s_nop 1
	v_cndmask_b32_e32 v6, v0, v6, vcc
	v_cndmask_b32_e32 v5, v5, v8, vcc
	v_cmp_ge_u32_e32 vcc, v5, v6
	s_or_b64 s[4:5], vcc, s[4:5]
	s_andn2_b64 exec, exec, s[4:5]
	s_cbranch_execnz .LBB4_14
; %bb.15:
	s_or_b64 exec, exec, s[4:5]
.LBB4_16:
	v_add_u32_e32 v0, v5, v4
	v_mov_b32_e32 v1, 0
	v_lshl_add_u64 v[6:7], v[0:1], 2, s[10:11]
	v_lshl_add_u64 v[0:1], v[0:1], 1, s[14:15]
	s_waitcnt vmcnt(0)
	global_store_dword v[6:7], v3, off
	global_store_short v[0:1], v2, off
.LBB4_17:
	s_or_b64 exec, exec, s[2:3]
	s_mov_b64 s[2:3], 0
.LBB4_18:
	s_andn2_b64 vcc, exec, s[2:3]
	s_cbranch_vccnz .LBB4_24
; %bb.19:
	s_cmp_ge_u32 s12, s16
	v_mov_b32_e32 v5, s13
	s_cbranch_scc1 .LBB4_23
; %bb.20:
	s_mov_b64 s[2:3], 0
	v_mov_b32_e32 v6, s16
	v_mov_b32_e32 v5, s13
	;; [unrolled: 1-line block ×3, first 2 shown]
.LBB4_21:                               ; =>This Inner Loop Header: Depth=1
	v_add_u32_e32 v0, v5, v6
	v_lshrrev_b32_e32 v0, 1, v0
	v_lshl_add_u64 v[8:9], v[0:1], 2, s[8:9]
	global_load_dword v7, v[8:9], off
	v_add_u32_e32 v8, 1, v0
	s_waitcnt vmcnt(0)
	v_cmp_gt_i32_e32 vcc, v7, v3
	s_nop 1
	v_cndmask_b32_e64 v9, 0, 1, vcc
	v_cmp_le_i32_e32 vcc, v3, v7
	s_nop 1
	v_cndmask_b32_e64 v7, 0, 1, vcc
	v_cndmask_b32_e64 v7, v7, v9, s[0:1]
	v_and_b32_e32 v7, 1, v7
	v_cmp_eq_u32_e32 vcc, 1, v7
	s_nop 1
	v_cndmask_b32_e32 v6, v0, v6, vcc
	v_cndmask_b32_e32 v5, v5, v8, vcc
	v_cmp_ge_u32_e32 vcc, v5, v6
	s_or_b64 s[2:3], vcc, s[2:3]
	s_andn2_b64 exec, exec, s[2:3]
	s_cbranch_execnz .LBB4_21
; %bb.22:
	s_or_b64 exec, exec, s[2:3]
.LBB4_23:
	v_add_u32_e32 v0, v5, v4
	v_mov_b32_e32 v1, 0
	v_lshl_add_u64 v[4:5], v[0:1], 2, s[10:11]
	v_lshl_add_u64 v[0:1], v[0:1], 1, s[14:15]
	s_waitcnt vmcnt(0)
	global_store_dword v[4:5], v3, off
	global_store_short v[0:1], v2, off
.LBB4_24:
	s_endpgm
	.section	.rodata,"a",@progbits
	.p2align	6, 0x0
	.amdhsa_kernel _ZN7rocprim17ROCPRIM_304000_NS6detail33device_block_merge_oddeven_kernelINS1_37wrapped_merge_sort_block_merge_configINS0_14default_configEiN2at4cuda3cub6detail10OpaqueTypeILi2EEEEEPiSC_PSA_SD_jNS1_19radix_merge_compareILb1ELb0EiNS0_19identity_decomposerEEEEEvT0_T1_T2_T3_T4_SL_T5_
		.amdhsa_group_segment_fixed_size 0
		.amdhsa_private_segment_fixed_size 0
		.amdhsa_kernarg_size 44
		.amdhsa_user_sgpr_count 2
		.amdhsa_user_sgpr_dispatch_ptr 0
		.amdhsa_user_sgpr_queue_ptr 0
		.amdhsa_user_sgpr_kernarg_segment_ptr 1
		.amdhsa_user_sgpr_dispatch_id 0
		.amdhsa_user_sgpr_kernarg_preload_length 0
		.amdhsa_user_sgpr_kernarg_preload_offset 0
		.amdhsa_user_sgpr_private_segment_size 0
		.amdhsa_uses_dynamic_stack 0
		.amdhsa_enable_private_segment 0
		.amdhsa_system_sgpr_workgroup_id_x 1
		.amdhsa_system_sgpr_workgroup_id_y 0
		.amdhsa_system_sgpr_workgroup_id_z 0
		.amdhsa_system_sgpr_workgroup_info 0
		.amdhsa_system_vgpr_workitem_id 0
		.amdhsa_next_free_vgpr 10
		.amdhsa_next_free_sgpr 22
		.amdhsa_accum_offset 12
		.amdhsa_reserve_vcc 1
		.amdhsa_float_round_mode_32 0
		.amdhsa_float_round_mode_16_64 0
		.amdhsa_float_denorm_mode_32 3
		.amdhsa_float_denorm_mode_16_64 3
		.amdhsa_dx10_clamp 1
		.amdhsa_ieee_mode 1
		.amdhsa_fp16_overflow 0
		.amdhsa_tg_split 0
		.amdhsa_exception_fp_ieee_invalid_op 0
		.amdhsa_exception_fp_denorm_src 0
		.amdhsa_exception_fp_ieee_div_zero 0
		.amdhsa_exception_fp_ieee_overflow 0
		.amdhsa_exception_fp_ieee_underflow 0
		.amdhsa_exception_fp_ieee_inexact 0
		.amdhsa_exception_int_div_zero 0
	.end_amdhsa_kernel
	.section	.text._ZN7rocprim17ROCPRIM_304000_NS6detail33device_block_merge_oddeven_kernelINS1_37wrapped_merge_sort_block_merge_configINS0_14default_configEiN2at4cuda3cub6detail10OpaqueTypeILi2EEEEEPiSC_PSA_SD_jNS1_19radix_merge_compareILb1ELb0EiNS0_19identity_decomposerEEEEEvT0_T1_T2_T3_T4_SL_T5_,"axG",@progbits,_ZN7rocprim17ROCPRIM_304000_NS6detail33device_block_merge_oddeven_kernelINS1_37wrapped_merge_sort_block_merge_configINS0_14default_configEiN2at4cuda3cub6detail10OpaqueTypeILi2EEEEEPiSC_PSA_SD_jNS1_19radix_merge_compareILb1ELb0EiNS0_19identity_decomposerEEEEEvT0_T1_T2_T3_T4_SL_T5_,comdat
.Lfunc_end4:
	.size	_ZN7rocprim17ROCPRIM_304000_NS6detail33device_block_merge_oddeven_kernelINS1_37wrapped_merge_sort_block_merge_configINS0_14default_configEiN2at4cuda3cub6detail10OpaqueTypeILi2EEEEEPiSC_PSA_SD_jNS1_19radix_merge_compareILb1ELb0EiNS0_19identity_decomposerEEEEEvT0_T1_T2_T3_T4_SL_T5_, .Lfunc_end4-_ZN7rocprim17ROCPRIM_304000_NS6detail33device_block_merge_oddeven_kernelINS1_37wrapped_merge_sort_block_merge_configINS0_14default_configEiN2at4cuda3cub6detail10OpaqueTypeILi2EEEEEPiSC_PSA_SD_jNS1_19radix_merge_compareILb1ELb0EiNS0_19identity_decomposerEEEEEvT0_T1_T2_T3_T4_SL_T5_
                                        ; -- End function
	.set _ZN7rocprim17ROCPRIM_304000_NS6detail33device_block_merge_oddeven_kernelINS1_37wrapped_merge_sort_block_merge_configINS0_14default_configEiN2at4cuda3cub6detail10OpaqueTypeILi2EEEEEPiSC_PSA_SD_jNS1_19radix_merge_compareILb1ELb0EiNS0_19identity_decomposerEEEEEvT0_T1_T2_T3_T4_SL_T5_.num_vgpr, 10
	.set _ZN7rocprim17ROCPRIM_304000_NS6detail33device_block_merge_oddeven_kernelINS1_37wrapped_merge_sort_block_merge_configINS0_14default_configEiN2at4cuda3cub6detail10OpaqueTypeILi2EEEEEPiSC_PSA_SD_jNS1_19radix_merge_compareILb1ELb0EiNS0_19identity_decomposerEEEEEvT0_T1_T2_T3_T4_SL_T5_.num_agpr, 0
	.set _ZN7rocprim17ROCPRIM_304000_NS6detail33device_block_merge_oddeven_kernelINS1_37wrapped_merge_sort_block_merge_configINS0_14default_configEiN2at4cuda3cub6detail10OpaqueTypeILi2EEEEEPiSC_PSA_SD_jNS1_19radix_merge_compareILb1ELb0EiNS0_19identity_decomposerEEEEEvT0_T1_T2_T3_T4_SL_T5_.numbered_sgpr, 22
	.set _ZN7rocprim17ROCPRIM_304000_NS6detail33device_block_merge_oddeven_kernelINS1_37wrapped_merge_sort_block_merge_configINS0_14default_configEiN2at4cuda3cub6detail10OpaqueTypeILi2EEEEEPiSC_PSA_SD_jNS1_19radix_merge_compareILb1ELb0EiNS0_19identity_decomposerEEEEEvT0_T1_T2_T3_T4_SL_T5_.num_named_barrier, 0
	.set _ZN7rocprim17ROCPRIM_304000_NS6detail33device_block_merge_oddeven_kernelINS1_37wrapped_merge_sort_block_merge_configINS0_14default_configEiN2at4cuda3cub6detail10OpaqueTypeILi2EEEEEPiSC_PSA_SD_jNS1_19radix_merge_compareILb1ELb0EiNS0_19identity_decomposerEEEEEvT0_T1_T2_T3_T4_SL_T5_.private_seg_size, 0
	.set _ZN7rocprim17ROCPRIM_304000_NS6detail33device_block_merge_oddeven_kernelINS1_37wrapped_merge_sort_block_merge_configINS0_14default_configEiN2at4cuda3cub6detail10OpaqueTypeILi2EEEEEPiSC_PSA_SD_jNS1_19radix_merge_compareILb1ELb0EiNS0_19identity_decomposerEEEEEvT0_T1_T2_T3_T4_SL_T5_.uses_vcc, 1
	.set _ZN7rocprim17ROCPRIM_304000_NS6detail33device_block_merge_oddeven_kernelINS1_37wrapped_merge_sort_block_merge_configINS0_14default_configEiN2at4cuda3cub6detail10OpaqueTypeILi2EEEEEPiSC_PSA_SD_jNS1_19radix_merge_compareILb1ELb0EiNS0_19identity_decomposerEEEEEvT0_T1_T2_T3_T4_SL_T5_.uses_flat_scratch, 0
	.set _ZN7rocprim17ROCPRIM_304000_NS6detail33device_block_merge_oddeven_kernelINS1_37wrapped_merge_sort_block_merge_configINS0_14default_configEiN2at4cuda3cub6detail10OpaqueTypeILi2EEEEEPiSC_PSA_SD_jNS1_19radix_merge_compareILb1ELb0EiNS0_19identity_decomposerEEEEEvT0_T1_T2_T3_T4_SL_T5_.has_dyn_sized_stack, 0
	.set _ZN7rocprim17ROCPRIM_304000_NS6detail33device_block_merge_oddeven_kernelINS1_37wrapped_merge_sort_block_merge_configINS0_14default_configEiN2at4cuda3cub6detail10OpaqueTypeILi2EEEEEPiSC_PSA_SD_jNS1_19radix_merge_compareILb1ELb0EiNS0_19identity_decomposerEEEEEvT0_T1_T2_T3_T4_SL_T5_.has_recursion, 0
	.set _ZN7rocprim17ROCPRIM_304000_NS6detail33device_block_merge_oddeven_kernelINS1_37wrapped_merge_sort_block_merge_configINS0_14default_configEiN2at4cuda3cub6detail10OpaqueTypeILi2EEEEEPiSC_PSA_SD_jNS1_19radix_merge_compareILb1ELb0EiNS0_19identity_decomposerEEEEEvT0_T1_T2_T3_T4_SL_T5_.has_indirect_call, 0
	.section	.AMDGPU.csdata,"",@progbits
; Kernel info:
; codeLenInByte = 748
; TotalNumSgprs: 28
; NumVgprs: 10
; NumAgprs: 0
; TotalNumVgprs: 10
; ScratchSize: 0
; MemoryBound: 0
; FloatMode: 240
; IeeeMode: 1
; LDSByteSize: 0 bytes/workgroup (compile time only)
; SGPRBlocks: 3
; VGPRBlocks: 1
; NumSGPRsForWavesPerEU: 28
; NumVGPRsForWavesPerEU: 10
; AccumOffset: 12
; Occupancy: 8
; WaveLimiterHint : 0
; COMPUTE_PGM_RSRC2:SCRATCH_EN: 0
; COMPUTE_PGM_RSRC2:USER_SGPR: 2
; COMPUTE_PGM_RSRC2:TRAP_HANDLER: 0
; COMPUTE_PGM_RSRC2:TGID_X_EN: 1
; COMPUTE_PGM_RSRC2:TGID_Y_EN: 0
; COMPUTE_PGM_RSRC2:TGID_Z_EN: 0
; COMPUTE_PGM_RSRC2:TIDIG_COMP_CNT: 0
; COMPUTE_PGM_RSRC3_GFX90A:ACCUM_OFFSET: 2
; COMPUTE_PGM_RSRC3_GFX90A:TG_SPLIT: 0
	.section	.text._ZN7rocprim17ROCPRIM_304000_NS6detail16transform_kernelINS1_24wrapped_transform_configINS0_14default_configEiEEiPiS6_NS0_8identityIiEEEEvT1_mT2_T3_,"axG",@progbits,_ZN7rocprim17ROCPRIM_304000_NS6detail16transform_kernelINS1_24wrapped_transform_configINS0_14default_configEiEEiPiS6_NS0_8identityIiEEEEvT1_mT2_T3_,comdat
	.protected	_ZN7rocprim17ROCPRIM_304000_NS6detail16transform_kernelINS1_24wrapped_transform_configINS0_14default_configEiEEiPiS6_NS0_8identityIiEEEEvT1_mT2_T3_ ; -- Begin function _ZN7rocprim17ROCPRIM_304000_NS6detail16transform_kernelINS1_24wrapped_transform_configINS0_14default_configEiEEiPiS6_NS0_8identityIiEEEEvT1_mT2_T3_
	.globl	_ZN7rocprim17ROCPRIM_304000_NS6detail16transform_kernelINS1_24wrapped_transform_configINS0_14default_configEiEEiPiS6_NS0_8identityIiEEEEvT1_mT2_T3_
	.p2align	8
	.type	_ZN7rocprim17ROCPRIM_304000_NS6detail16transform_kernelINS1_24wrapped_transform_configINS0_14default_configEiEEiPiS6_NS0_8identityIiEEEEvT1_mT2_T3_,@function
_ZN7rocprim17ROCPRIM_304000_NS6detail16transform_kernelINS1_24wrapped_transform_configINS0_14default_configEiEEiPiS6_NS0_8identityIiEEEEvT1_mT2_T3_: ; @_ZN7rocprim17ROCPRIM_304000_NS6detail16transform_kernelINS1_24wrapped_transform_configINS0_14default_configEiEEiPiS6_NS0_8identityIiEEEEvT1_mT2_T3_
; %bb.0:
	s_load_dword s3, s[0:1], 0x20
	s_load_dwordx4 s[4:7], s[0:1], 0x0
	s_load_dwordx2 s[8:9], s[0:1], 0x10
	s_lshl_b32 s0, s2, 8
	s_mov_b32 s1, 0
	s_waitcnt lgkmcnt(0)
	s_add_i32 s3, s3, -1
	s_lshl_b64 s[10:11], s[0:1], 2
	s_add_u32 s4, s4, s10
	s_addc_u32 s5, s5, s11
	v_mov_b32_e32 v3, 0
	v_lshlrev_b32_e32 v2, 2, v0
	s_cmp_lg_u32 s2, s3
	v_lshl_add_u64 v[4:5], s[4:5], 0, v[2:3]
	s_cbranch_scc0 .LBB5_2
; %bb.1:
	global_load_dword v3, v[4:5], off
	global_load_dword v1, v[4:5], off offset:512
	s_add_u32 s2, s8, s10
	s_addc_u32 s3, s9, s11
	s_waitcnt vmcnt(1)
	global_store_dword v2, v3, s[2:3]
	s_mov_b64 s[2:3], -1
	s_cbranch_execz .LBB5_3
	s_branch .LBB5_10
.LBB5_2:
	s_mov_b64 s[2:3], 0
                                        ; implicit-def: $vgpr1
.LBB5_3:
	s_sub_i32 s4, s6, s0
	v_mov_b32_e32 v6, 0
	v_cmp_gt_u32_e32 vcc, s4, v0
	v_mov_b32_e32 v7, v6
	s_and_saveexec_b64 s[0:1], vcc
	s_cbranch_execz .LBB5_5
; %bb.4:
	global_load_dword v8, v[4:5], off
	v_mov_b32_e32 v9, v6
	s_waitcnt vmcnt(0)
	v_mov_b64_e32 v[6:7], v[8:9]
.LBB5_5:
	s_or_b64 exec, exec, s[0:1]
	v_or_b32_e32 v0, 0x80, v0
	v_cmp_gt_u32_e64 s[0:1], s4, v0
	s_and_saveexec_b64 s[4:5], s[0:1]
	s_cbranch_execnz .LBB5_13
; %bb.6:
	s_or_b64 exec, exec, s[4:5]
	v_cndmask_b32_e32 v0, 0, v6, vcc
	s_and_saveexec_b64 s[4:5], vcc
	s_cbranch_execnz .LBB5_14
.LBB5_7:
	s_or_b64 exec, exec, s[4:5]
                                        ; implicit-def: $vgpr1
	s_and_saveexec_b64 s[4:5], s[0:1]
	s_cbranch_execz .LBB5_9
.LBB5_8:
	s_waitcnt vmcnt(0)
	v_cndmask_b32_e64 v1, 0, v7, s[0:1]
	s_or_b64 s[2:3], s[2:3], exec
.LBB5_9:
	s_or_b64 exec, exec, s[4:5]
.LBB5_10:
	s_and_saveexec_b64 s[0:1], s[2:3]
	s_cbranch_execnz .LBB5_12
; %bb.11:
	s_endpgm
.LBB5_12:
	s_add_u32 s0, s8, s10
	s_addc_u32 s1, s9, s11
	s_waitcnt vmcnt(1)
	global_store_dword v2, v1, s[0:1] offset:512
	s_endpgm
.LBB5_13:
	global_load_dword v7, v[4:5], off offset:512
	s_or_b64 exec, exec, s[4:5]
	v_cndmask_b32_e32 v0, 0, v6, vcc
	s_and_saveexec_b64 s[4:5], vcc
	s_cbranch_execz .LBB5_7
.LBB5_14:
	s_add_u32 s6, s8, s10
	s_addc_u32 s7, s9, s11
	global_store_dword v2, v0, s[6:7]
	s_or_b64 exec, exec, s[4:5]
                                        ; implicit-def: $vgpr1
	s_and_saveexec_b64 s[4:5], s[0:1]
	s_cbranch_execnz .LBB5_8
	s_branch .LBB5_9
	.section	.rodata,"a",@progbits
	.p2align	6, 0x0
	.amdhsa_kernel _ZN7rocprim17ROCPRIM_304000_NS6detail16transform_kernelINS1_24wrapped_transform_configINS0_14default_configEiEEiPiS6_NS0_8identityIiEEEEvT1_mT2_T3_
		.amdhsa_group_segment_fixed_size 0
		.amdhsa_private_segment_fixed_size 0
		.amdhsa_kernarg_size 288
		.amdhsa_user_sgpr_count 2
		.amdhsa_user_sgpr_dispatch_ptr 0
		.amdhsa_user_sgpr_queue_ptr 0
		.amdhsa_user_sgpr_kernarg_segment_ptr 1
		.amdhsa_user_sgpr_dispatch_id 0
		.amdhsa_user_sgpr_kernarg_preload_length 0
		.amdhsa_user_sgpr_kernarg_preload_offset 0
		.amdhsa_user_sgpr_private_segment_size 0
		.amdhsa_uses_dynamic_stack 0
		.amdhsa_enable_private_segment 0
		.amdhsa_system_sgpr_workgroup_id_x 1
		.amdhsa_system_sgpr_workgroup_id_y 0
		.amdhsa_system_sgpr_workgroup_id_z 0
		.amdhsa_system_sgpr_workgroup_info 0
		.amdhsa_system_vgpr_workitem_id 0
		.amdhsa_next_free_vgpr 10
		.amdhsa_next_free_sgpr 12
		.amdhsa_accum_offset 12
		.amdhsa_reserve_vcc 1
		.amdhsa_float_round_mode_32 0
		.amdhsa_float_round_mode_16_64 0
		.amdhsa_float_denorm_mode_32 3
		.amdhsa_float_denorm_mode_16_64 3
		.amdhsa_dx10_clamp 1
		.amdhsa_ieee_mode 1
		.amdhsa_fp16_overflow 0
		.amdhsa_tg_split 0
		.amdhsa_exception_fp_ieee_invalid_op 0
		.amdhsa_exception_fp_denorm_src 0
		.amdhsa_exception_fp_ieee_div_zero 0
		.amdhsa_exception_fp_ieee_overflow 0
		.amdhsa_exception_fp_ieee_underflow 0
		.amdhsa_exception_fp_ieee_inexact 0
		.amdhsa_exception_int_div_zero 0
	.end_amdhsa_kernel
	.section	.text._ZN7rocprim17ROCPRIM_304000_NS6detail16transform_kernelINS1_24wrapped_transform_configINS0_14default_configEiEEiPiS6_NS0_8identityIiEEEEvT1_mT2_T3_,"axG",@progbits,_ZN7rocprim17ROCPRIM_304000_NS6detail16transform_kernelINS1_24wrapped_transform_configINS0_14default_configEiEEiPiS6_NS0_8identityIiEEEEvT1_mT2_T3_,comdat
.Lfunc_end5:
	.size	_ZN7rocprim17ROCPRIM_304000_NS6detail16transform_kernelINS1_24wrapped_transform_configINS0_14default_configEiEEiPiS6_NS0_8identityIiEEEEvT1_mT2_T3_, .Lfunc_end5-_ZN7rocprim17ROCPRIM_304000_NS6detail16transform_kernelINS1_24wrapped_transform_configINS0_14default_configEiEEiPiS6_NS0_8identityIiEEEEvT1_mT2_T3_
                                        ; -- End function
	.set _ZN7rocprim17ROCPRIM_304000_NS6detail16transform_kernelINS1_24wrapped_transform_configINS0_14default_configEiEEiPiS6_NS0_8identityIiEEEEvT1_mT2_T3_.num_vgpr, 10
	.set _ZN7rocprim17ROCPRIM_304000_NS6detail16transform_kernelINS1_24wrapped_transform_configINS0_14default_configEiEEiPiS6_NS0_8identityIiEEEEvT1_mT2_T3_.num_agpr, 0
	.set _ZN7rocprim17ROCPRIM_304000_NS6detail16transform_kernelINS1_24wrapped_transform_configINS0_14default_configEiEEiPiS6_NS0_8identityIiEEEEvT1_mT2_T3_.numbered_sgpr, 12
	.set _ZN7rocprim17ROCPRIM_304000_NS6detail16transform_kernelINS1_24wrapped_transform_configINS0_14default_configEiEEiPiS6_NS0_8identityIiEEEEvT1_mT2_T3_.num_named_barrier, 0
	.set _ZN7rocprim17ROCPRIM_304000_NS6detail16transform_kernelINS1_24wrapped_transform_configINS0_14default_configEiEEiPiS6_NS0_8identityIiEEEEvT1_mT2_T3_.private_seg_size, 0
	.set _ZN7rocprim17ROCPRIM_304000_NS6detail16transform_kernelINS1_24wrapped_transform_configINS0_14default_configEiEEiPiS6_NS0_8identityIiEEEEvT1_mT2_T3_.uses_vcc, 1
	.set _ZN7rocprim17ROCPRIM_304000_NS6detail16transform_kernelINS1_24wrapped_transform_configINS0_14default_configEiEEiPiS6_NS0_8identityIiEEEEvT1_mT2_T3_.uses_flat_scratch, 0
	.set _ZN7rocprim17ROCPRIM_304000_NS6detail16transform_kernelINS1_24wrapped_transform_configINS0_14default_configEiEEiPiS6_NS0_8identityIiEEEEvT1_mT2_T3_.has_dyn_sized_stack, 0
	.set _ZN7rocprim17ROCPRIM_304000_NS6detail16transform_kernelINS1_24wrapped_transform_configINS0_14default_configEiEEiPiS6_NS0_8identityIiEEEEvT1_mT2_T3_.has_recursion, 0
	.set _ZN7rocprim17ROCPRIM_304000_NS6detail16transform_kernelINS1_24wrapped_transform_configINS0_14default_configEiEEiPiS6_NS0_8identityIiEEEEvT1_mT2_T3_.has_indirect_call, 0
	.section	.AMDGPU.csdata,"",@progbits
; Kernel info:
; codeLenInByte = 340
; TotalNumSgprs: 18
; NumVgprs: 10
; NumAgprs: 0
; TotalNumVgprs: 10
; ScratchSize: 0
; MemoryBound: 0
; FloatMode: 240
; IeeeMode: 1
; LDSByteSize: 0 bytes/workgroup (compile time only)
; SGPRBlocks: 2
; VGPRBlocks: 1
; NumSGPRsForWavesPerEU: 18
; NumVGPRsForWavesPerEU: 10
; AccumOffset: 12
; Occupancy: 8
; WaveLimiterHint : 1
; COMPUTE_PGM_RSRC2:SCRATCH_EN: 0
; COMPUTE_PGM_RSRC2:USER_SGPR: 2
; COMPUTE_PGM_RSRC2:TRAP_HANDLER: 0
; COMPUTE_PGM_RSRC2:TGID_X_EN: 1
; COMPUTE_PGM_RSRC2:TGID_Y_EN: 0
; COMPUTE_PGM_RSRC2:TGID_Z_EN: 0
; COMPUTE_PGM_RSRC2:TIDIG_COMP_CNT: 0
; COMPUTE_PGM_RSRC3_GFX90A:ACCUM_OFFSET: 2
; COMPUTE_PGM_RSRC3_GFX90A:TG_SPLIT: 0
	.section	.text._ZN7rocprim17ROCPRIM_304000_NS6detail16transform_kernelINS1_24wrapped_transform_configINS0_14default_configEN2at4cuda3cub6detail10OpaqueTypeILi2EEEEESA_PSA_SC_NS0_8identityISA_EEEEvT1_mT2_T3_,"axG",@progbits,_ZN7rocprim17ROCPRIM_304000_NS6detail16transform_kernelINS1_24wrapped_transform_configINS0_14default_configEN2at4cuda3cub6detail10OpaqueTypeILi2EEEEESA_PSA_SC_NS0_8identityISA_EEEEvT1_mT2_T3_,comdat
	.protected	_ZN7rocprim17ROCPRIM_304000_NS6detail16transform_kernelINS1_24wrapped_transform_configINS0_14default_configEN2at4cuda3cub6detail10OpaqueTypeILi2EEEEESA_PSA_SC_NS0_8identityISA_EEEEvT1_mT2_T3_ ; -- Begin function _ZN7rocprim17ROCPRIM_304000_NS6detail16transform_kernelINS1_24wrapped_transform_configINS0_14default_configEN2at4cuda3cub6detail10OpaqueTypeILi2EEEEESA_PSA_SC_NS0_8identityISA_EEEEvT1_mT2_T3_
	.globl	_ZN7rocprim17ROCPRIM_304000_NS6detail16transform_kernelINS1_24wrapped_transform_configINS0_14default_configEN2at4cuda3cub6detail10OpaqueTypeILi2EEEEESA_PSA_SC_NS0_8identityISA_EEEEvT1_mT2_T3_
	.p2align	8
	.type	_ZN7rocprim17ROCPRIM_304000_NS6detail16transform_kernelINS1_24wrapped_transform_configINS0_14default_configEN2at4cuda3cub6detail10OpaqueTypeILi2EEEEESA_PSA_SC_NS0_8identityISA_EEEEvT1_mT2_T3_,@function
_ZN7rocprim17ROCPRIM_304000_NS6detail16transform_kernelINS1_24wrapped_transform_configINS0_14default_configEN2at4cuda3cub6detail10OpaqueTypeILi2EEEEESA_PSA_SC_NS0_8identityISA_EEEEvT1_mT2_T3_: ; @_ZN7rocprim17ROCPRIM_304000_NS6detail16transform_kernelINS1_24wrapped_transform_configINS0_14default_configEN2at4cuda3cub6detail10OpaqueTypeILi2EEEEESA_PSA_SC_NS0_8identityISA_EEEEvT1_mT2_T3_
; %bb.0:
	s_load_dword s3, s[0:1], 0x20
	s_load_dwordx4 s[4:7], s[0:1], 0x0
	s_load_dwordx2 s[8:9], s[0:1], 0x10
	s_lshl_b32 s0, s2, 9
	s_mov_b32 s1, 0
	s_waitcnt lgkmcnt(0)
	s_add_i32 s3, s3, -1
	s_lshl_b64 s[10:11], s[0:1], 1
	s_add_u32 s4, s4, s10
	s_addc_u32 s5, s5, s11
	v_mov_b32_e32 v3, 0
	v_lshlrev_b32_e32 v2, 1, v0
	s_cmp_lg_u32 s2, s3
	v_lshl_add_u64 v[4:5], s[4:5], 0, v[2:3]
	s_cbranch_scc0 .LBB6_2
; %bb.1:
	global_load_ushort v1, v[4:5], off
	global_load_ushort v3, v[4:5], off offset:256
	global_load_ushort v7, v[4:5], off offset:512
	;; [unrolled: 1-line block ×3, first 2 shown]
	s_add_u32 s4, s8, s10
	s_addc_u32 s5, s9, s11
	s_waitcnt vmcnt(3)
	global_store_short v2, v1, s[4:5]
	s_waitcnt vmcnt(3)
	global_store_short v2, v3, s[4:5] offset:256
	s_waitcnt vmcnt(3)
	global_store_short v2, v7, s[4:5] offset:512
	s_mov_b64 s[4:5], -1
	s_cbranch_execz .LBB6_3
	s_branch .LBB6_16
.LBB6_2:
	s_mov_b64 s[4:5], 0
                                        ; implicit-def: $vgpr6
.LBB6_3:
	s_sub_i32 s6, s6, s0
	v_cmp_gt_u32_e32 vcc, s6, v0
                                        ; implicit-def: $vgpr7
	s_and_saveexec_b64 s[0:1], vcc
	s_cbranch_execz .LBB6_5
; %bb.4:
	global_load_ushort v7, v[4:5], off
.LBB6_5:
	s_or_b64 exec, exec, s[0:1]
	v_or_b32_e32 v1, 0x80, v0
	v_cmp_gt_u32_e64 s[0:1], s6, v1
                                        ; implicit-def: $vgpr8
	s_and_saveexec_b64 s[2:3], s[0:1]
	s_cbranch_execz .LBB6_7
; %bb.6:
	global_load_ushort v8, v[4:5], off offset:256
.LBB6_7:
	s_or_b64 exec, exec, s[2:3]
	v_or_b32_e32 v1, 0x100, v0
	v_cmp_gt_u32_e64 s[2:3], s6, v1
                                        ; implicit-def: $vgpr9
	s_and_saveexec_b64 s[4:5], s[2:3]
	s_cbranch_execz .LBB6_9
; %bb.8:
	global_load_ushort v9, v[4:5], off offset:512
.LBB6_9:
	s_or_b64 exec, exec, s[4:5]
	v_or_b32_e32 v0, 0x180, v0
	v_cmp_gt_u32_e64 s[4:5], s6, v0
                                        ; implicit-def: $vgpr6
	s_and_saveexec_b64 s[6:7], s[4:5]
	s_cbranch_execz .LBB6_11
; %bb.10:
	global_load_ushort v6, v[4:5], off offset:768
.LBB6_11:
	s_or_b64 exec, exec, s[6:7]
	s_add_u32 s6, s8, s10
	s_addc_u32 s7, s9, s11
	v_mov_b32_e32 v3, 0
	v_lshl_add_u64 v[0:1], s[6:7], 0, v[2:3]
	s_and_saveexec_b64 s[6:7], vcc
	s_cbranch_execnz .LBB6_19
; %bb.12:
	s_or_b64 exec, exec, s[6:7]
	s_and_saveexec_b64 s[6:7], s[0:1]
	s_cbranch_execnz .LBB6_20
.LBB6_13:
	s_or_b64 exec, exec, s[6:7]
	s_and_saveexec_b64 s[0:1], s[2:3]
	s_cbranch_execz .LBB6_15
.LBB6_14:
	s_waitcnt vmcnt(0)
	global_store_short v[0:1], v9, off offset:512
.LBB6_15:
	s_or_b64 exec, exec, s[0:1]
.LBB6_16:
	s_and_saveexec_b64 s[0:1], s[4:5]
	s_cbranch_execnz .LBB6_18
; %bb.17:
	s_endpgm
.LBB6_18:
	s_add_u32 s0, s8, s10
	s_addc_u32 s1, s9, s11
	s_waitcnt vmcnt(0)
	global_store_short v2, v6, s[0:1] offset:768
	s_endpgm
.LBB6_19:
	s_waitcnt vmcnt(0)
	global_store_short v[0:1], v7, off
	s_or_b64 exec, exec, s[6:7]
	s_and_saveexec_b64 s[6:7], s[0:1]
	s_cbranch_execz .LBB6_13
.LBB6_20:
	s_waitcnt vmcnt(0)
	global_store_short v[0:1], v8, off offset:256
	s_or_b64 exec, exec, s[6:7]
	s_and_saveexec_b64 s[0:1], s[2:3]
	s_cbranch_execnz .LBB6_14
	s_branch .LBB6_15
	.section	.rodata,"a",@progbits
	.p2align	6, 0x0
	.amdhsa_kernel _ZN7rocprim17ROCPRIM_304000_NS6detail16transform_kernelINS1_24wrapped_transform_configINS0_14default_configEN2at4cuda3cub6detail10OpaqueTypeILi2EEEEESA_PSA_SC_NS0_8identityISA_EEEEvT1_mT2_T3_
		.amdhsa_group_segment_fixed_size 0
		.amdhsa_private_segment_fixed_size 0
		.amdhsa_kernarg_size 288
		.amdhsa_user_sgpr_count 2
		.amdhsa_user_sgpr_dispatch_ptr 0
		.amdhsa_user_sgpr_queue_ptr 0
		.amdhsa_user_sgpr_kernarg_segment_ptr 1
		.amdhsa_user_sgpr_dispatch_id 0
		.amdhsa_user_sgpr_kernarg_preload_length 0
		.amdhsa_user_sgpr_kernarg_preload_offset 0
		.amdhsa_user_sgpr_private_segment_size 0
		.amdhsa_uses_dynamic_stack 0
		.amdhsa_enable_private_segment 0
		.amdhsa_system_sgpr_workgroup_id_x 1
		.amdhsa_system_sgpr_workgroup_id_y 0
		.amdhsa_system_sgpr_workgroup_id_z 0
		.amdhsa_system_sgpr_workgroup_info 0
		.amdhsa_system_vgpr_workitem_id 0
		.amdhsa_next_free_vgpr 10
		.amdhsa_next_free_sgpr 12
		.amdhsa_accum_offset 12
		.amdhsa_reserve_vcc 1
		.amdhsa_float_round_mode_32 0
		.amdhsa_float_round_mode_16_64 0
		.amdhsa_float_denorm_mode_32 3
		.amdhsa_float_denorm_mode_16_64 3
		.amdhsa_dx10_clamp 1
		.amdhsa_ieee_mode 1
		.amdhsa_fp16_overflow 0
		.amdhsa_tg_split 0
		.amdhsa_exception_fp_ieee_invalid_op 0
		.amdhsa_exception_fp_denorm_src 0
		.amdhsa_exception_fp_ieee_div_zero 0
		.amdhsa_exception_fp_ieee_overflow 0
		.amdhsa_exception_fp_ieee_underflow 0
		.amdhsa_exception_fp_ieee_inexact 0
		.amdhsa_exception_int_div_zero 0
	.end_amdhsa_kernel
	.section	.text._ZN7rocprim17ROCPRIM_304000_NS6detail16transform_kernelINS1_24wrapped_transform_configINS0_14default_configEN2at4cuda3cub6detail10OpaqueTypeILi2EEEEESA_PSA_SC_NS0_8identityISA_EEEEvT1_mT2_T3_,"axG",@progbits,_ZN7rocprim17ROCPRIM_304000_NS6detail16transform_kernelINS1_24wrapped_transform_configINS0_14default_configEN2at4cuda3cub6detail10OpaqueTypeILi2EEEEESA_PSA_SC_NS0_8identityISA_EEEEvT1_mT2_T3_,comdat
.Lfunc_end6:
	.size	_ZN7rocprim17ROCPRIM_304000_NS6detail16transform_kernelINS1_24wrapped_transform_configINS0_14default_configEN2at4cuda3cub6detail10OpaqueTypeILi2EEEEESA_PSA_SC_NS0_8identityISA_EEEEvT1_mT2_T3_, .Lfunc_end6-_ZN7rocprim17ROCPRIM_304000_NS6detail16transform_kernelINS1_24wrapped_transform_configINS0_14default_configEN2at4cuda3cub6detail10OpaqueTypeILi2EEEEESA_PSA_SC_NS0_8identityISA_EEEEvT1_mT2_T3_
                                        ; -- End function
	.set _ZN7rocprim17ROCPRIM_304000_NS6detail16transform_kernelINS1_24wrapped_transform_configINS0_14default_configEN2at4cuda3cub6detail10OpaqueTypeILi2EEEEESA_PSA_SC_NS0_8identityISA_EEEEvT1_mT2_T3_.num_vgpr, 10
	.set _ZN7rocprim17ROCPRIM_304000_NS6detail16transform_kernelINS1_24wrapped_transform_configINS0_14default_configEN2at4cuda3cub6detail10OpaqueTypeILi2EEEEESA_PSA_SC_NS0_8identityISA_EEEEvT1_mT2_T3_.num_agpr, 0
	.set _ZN7rocprim17ROCPRIM_304000_NS6detail16transform_kernelINS1_24wrapped_transform_configINS0_14default_configEN2at4cuda3cub6detail10OpaqueTypeILi2EEEEESA_PSA_SC_NS0_8identityISA_EEEEvT1_mT2_T3_.numbered_sgpr, 12
	.set _ZN7rocprim17ROCPRIM_304000_NS6detail16transform_kernelINS1_24wrapped_transform_configINS0_14default_configEN2at4cuda3cub6detail10OpaqueTypeILi2EEEEESA_PSA_SC_NS0_8identityISA_EEEEvT1_mT2_T3_.num_named_barrier, 0
	.set _ZN7rocprim17ROCPRIM_304000_NS6detail16transform_kernelINS1_24wrapped_transform_configINS0_14default_configEN2at4cuda3cub6detail10OpaqueTypeILi2EEEEESA_PSA_SC_NS0_8identityISA_EEEEvT1_mT2_T3_.private_seg_size, 0
	.set _ZN7rocprim17ROCPRIM_304000_NS6detail16transform_kernelINS1_24wrapped_transform_configINS0_14default_configEN2at4cuda3cub6detail10OpaqueTypeILi2EEEEESA_PSA_SC_NS0_8identityISA_EEEEvT1_mT2_T3_.uses_vcc, 1
	.set _ZN7rocprim17ROCPRIM_304000_NS6detail16transform_kernelINS1_24wrapped_transform_configINS0_14default_configEN2at4cuda3cub6detail10OpaqueTypeILi2EEEEESA_PSA_SC_NS0_8identityISA_EEEEvT1_mT2_T3_.uses_flat_scratch, 0
	.set _ZN7rocprim17ROCPRIM_304000_NS6detail16transform_kernelINS1_24wrapped_transform_configINS0_14default_configEN2at4cuda3cub6detail10OpaqueTypeILi2EEEEESA_PSA_SC_NS0_8identityISA_EEEEvT1_mT2_T3_.has_dyn_sized_stack, 0
	.set _ZN7rocprim17ROCPRIM_304000_NS6detail16transform_kernelINS1_24wrapped_transform_configINS0_14default_configEN2at4cuda3cub6detail10OpaqueTypeILi2EEEEESA_PSA_SC_NS0_8identityISA_EEEEvT1_mT2_T3_.has_recursion, 0
	.set _ZN7rocprim17ROCPRIM_304000_NS6detail16transform_kernelINS1_24wrapped_transform_configINS0_14default_configEN2at4cuda3cub6detail10OpaqueTypeILi2EEEEESA_PSA_SC_NS0_8identityISA_EEEEvT1_mT2_T3_.has_indirect_call, 0
	.section	.AMDGPU.csdata,"",@progbits
; Kernel info:
; codeLenInByte = 460
; TotalNumSgprs: 18
; NumVgprs: 10
; NumAgprs: 0
; TotalNumVgprs: 10
; ScratchSize: 0
; MemoryBound: 0
; FloatMode: 240
; IeeeMode: 1
; LDSByteSize: 0 bytes/workgroup (compile time only)
; SGPRBlocks: 2
; VGPRBlocks: 1
; NumSGPRsForWavesPerEU: 18
; NumVGPRsForWavesPerEU: 10
; AccumOffset: 12
; Occupancy: 8
; WaveLimiterHint : 1
; COMPUTE_PGM_RSRC2:SCRATCH_EN: 0
; COMPUTE_PGM_RSRC2:USER_SGPR: 2
; COMPUTE_PGM_RSRC2:TRAP_HANDLER: 0
; COMPUTE_PGM_RSRC2:TGID_X_EN: 1
; COMPUTE_PGM_RSRC2:TGID_Y_EN: 0
; COMPUTE_PGM_RSRC2:TGID_Z_EN: 0
; COMPUTE_PGM_RSRC2:TIDIG_COMP_CNT: 0
; COMPUTE_PGM_RSRC3_GFX90A:ACCUM_OFFSET: 2
; COMPUTE_PGM_RSRC3_GFX90A:TG_SPLIT: 0
	.section	.text._ZN7rocprim17ROCPRIM_304000_NS6detail45device_block_merge_mergepath_partition_kernelINS1_37wrapped_merge_sort_block_merge_configINS0_14default_configEiN2at4cuda3cub6detail10OpaqueTypeILi2EEEEEPijNS1_19radix_merge_compareILb1ELb1EiNS0_19identity_decomposerEEEEEvT0_T1_jPSH_T2_SH_,"axG",@progbits,_ZN7rocprim17ROCPRIM_304000_NS6detail45device_block_merge_mergepath_partition_kernelINS1_37wrapped_merge_sort_block_merge_configINS0_14default_configEiN2at4cuda3cub6detail10OpaqueTypeILi2EEEEEPijNS1_19radix_merge_compareILb1ELb1EiNS0_19identity_decomposerEEEEEvT0_T1_jPSH_T2_SH_,comdat
	.protected	_ZN7rocprim17ROCPRIM_304000_NS6detail45device_block_merge_mergepath_partition_kernelINS1_37wrapped_merge_sort_block_merge_configINS0_14default_configEiN2at4cuda3cub6detail10OpaqueTypeILi2EEEEEPijNS1_19radix_merge_compareILb1ELb1EiNS0_19identity_decomposerEEEEEvT0_T1_jPSH_T2_SH_ ; -- Begin function _ZN7rocprim17ROCPRIM_304000_NS6detail45device_block_merge_mergepath_partition_kernelINS1_37wrapped_merge_sort_block_merge_configINS0_14default_configEiN2at4cuda3cub6detail10OpaqueTypeILi2EEEEEPijNS1_19radix_merge_compareILb1ELb1EiNS0_19identity_decomposerEEEEEvT0_T1_jPSH_T2_SH_
	.globl	_ZN7rocprim17ROCPRIM_304000_NS6detail45device_block_merge_mergepath_partition_kernelINS1_37wrapped_merge_sort_block_merge_configINS0_14default_configEiN2at4cuda3cub6detail10OpaqueTypeILi2EEEEEPijNS1_19radix_merge_compareILb1ELb1EiNS0_19identity_decomposerEEEEEvT0_T1_jPSH_T2_SH_
	.p2align	8
	.type	_ZN7rocprim17ROCPRIM_304000_NS6detail45device_block_merge_mergepath_partition_kernelINS1_37wrapped_merge_sort_block_merge_configINS0_14default_configEiN2at4cuda3cub6detail10OpaqueTypeILi2EEEEEPijNS1_19radix_merge_compareILb1ELb1EiNS0_19identity_decomposerEEEEEvT0_T1_jPSH_T2_SH_,@function
_ZN7rocprim17ROCPRIM_304000_NS6detail45device_block_merge_mergepath_partition_kernelINS1_37wrapped_merge_sort_block_merge_configINS0_14default_configEiN2at4cuda3cub6detail10OpaqueTypeILi2EEEEEPijNS1_19radix_merge_compareILb1ELb1EiNS0_19identity_decomposerEEEEEvT0_T1_jPSH_T2_SH_: ; @_ZN7rocprim17ROCPRIM_304000_NS6detail45device_block_merge_mergepath_partition_kernelINS1_37wrapped_merge_sort_block_merge_configINS0_14default_configEiN2at4cuda3cub6detail10OpaqueTypeILi2EEEEEPijNS1_19radix_merge_compareILb1ELb1EiNS0_19identity_decomposerEEEEEvT0_T1_jPSH_T2_SH_
; %bb.0:
	s_load_dwordx2 s[4:5], s[0:1], 0x8
	v_lshl_or_b32 v0, s2, 7, v0
	s_waitcnt lgkmcnt(0)
	v_cmp_gt_u32_e32 vcc, s5, v0
	s_and_saveexec_b64 s[2:3], vcc
	s_cbranch_execz .LBB7_6
; %bb.1:
	s_load_dwordx2 s[2:3], s[0:1], 0x18
	s_waitcnt lgkmcnt(0)
	s_lshr_b32 s5, s3, 9
	s_and_b32 s5, s5, 0x7ffffe
	s_add_i32 s6, s5, -1
	s_sub_i32 s5, 0, s5
	v_and_b32_e32 v1, s5, v0
	v_and_b32_e32 v2, s6, v0
	v_lshlrev_b32_e32 v1, 10, v1
	v_lshlrev_b32_e32 v3, 10, v2
	v_min_u32_e32 v2, s4, v1
	v_add_u32_e32 v1, s3, v1
	v_min_u32_e32 v4, s4, v1
	v_add_u32_e32 v1, s3, v4
	v_min_u32_e32 v1, s4, v1
	v_sub_u32_e32 v5, v1, v2
	v_min_u32_e32 v10, v5, v3
	v_sub_u32_e32 v3, v4, v2
	v_sub_u32_e32 v1, v1, v4
	v_sub_u32_e64 v1, v10, v1 clamp
	v_min_u32_e32 v11, v10, v3
	v_cmp_lt_u32_e32 vcc, v1, v11
	s_and_saveexec_b64 s[4:5], vcc
	s_cbranch_execz .LBB7_5
; %bb.2:
	s_load_dwordx2 s[6:7], s[0:1], 0x0
	v_mov_b32_e32 v5, 0
	v_mov_b32_e32 v3, v5
	s_waitcnt lgkmcnt(0)
	v_lshl_add_u64 v[6:7], v[2:3], 2, s[6:7]
	v_lshl_add_u64 v[8:9], v[4:5], 2, s[6:7]
	s_mov_b64 s[6:7], 0
.LBB7_3:                                ; =>This Inner Loop Header: Depth=1
	v_add_u32_e32 v3, v11, v1
	v_lshrrev_b32_e32 v4, 1, v3
	v_mov_b32_e32 v13, v5
	v_xad_u32 v12, v4, -1, v10
	v_lshl_add_u64 v[14:15], v[4:5], 2, v[6:7]
	v_lshl_add_u64 v[12:13], v[12:13], 2, v[8:9]
	global_load_dword v3, v[14:15], off
	global_load_dword v16, v[12:13], off
	v_add_u32_e32 v12, 1, v4
	s_waitcnt vmcnt(1)
	v_and_b32_e32 v3, s2, v3
	s_waitcnt vmcnt(0)
	v_and_b32_e32 v13, s2, v16
	v_cmp_gt_i32_e32 vcc, v13, v3
	s_nop 1
	v_cndmask_b32_e32 v11, v11, v4, vcc
	v_cndmask_b32_e32 v1, v12, v1, vcc
	v_cmp_ge_u32_e32 vcc, v1, v11
	s_or_b64 s[6:7], vcc, s[6:7]
	s_andn2_b64 exec, exec, s[6:7]
	s_cbranch_execnz .LBB7_3
; %bb.4:
	s_or_b64 exec, exec, s[6:7]
.LBB7_5:
	s_or_b64 exec, exec, s[4:5]
	s_load_dwordx2 s[0:1], s[0:1], 0x10
	v_add_u32_e32 v2, v1, v2
	v_mov_b32_e32 v1, 0
	s_waitcnt lgkmcnt(0)
	v_lshl_add_u64 v[0:1], v[0:1], 2, s[0:1]
	global_store_dword v[0:1], v2, off
.LBB7_6:
	s_endpgm
	.section	.rodata,"a",@progbits
	.p2align	6, 0x0
	.amdhsa_kernel _ZN7rocprim17ROCPRIM_304000_NS6detail45device_block_merge_mergepath_partition_kernelINS1_37wrapped_merge_sort_block_merge_configINS0_14default_configEiN2at4cuda3cub6detail10OpaqueTypeILi2EEEEEPijNS1_19radix_merge_compareILb1ELb1EiNS0_19identity_decomposerEEEEEvT0_T1_jPSH_T2_SH_
		.amdhsa_group_segment_fixed_size 0
		.amdhsa_private_segment_fixed_size 0
		.amdhsa_kernarg_size 32
		.amdhsa_user_sgpr_count 2
		.amdhsa_user_sgpr_dispatch_ptr 0
		.amdhsa_user_sgpr_queue_ptr 0
		.amdhsa_user_sgpr_kernarg_segment_ptr 1
		.amdhsa_user_sgpr_dispatch_id 0
		.amdhsa_user_sgpr_kernarg_preload_length 0
		.amdhsa_user_sgpr_kernarg_preload_offset 0
		.amdhsa_user_sgpr_private_segment_size 0
		.amdhsa_uses_dynamic_stack 0
		.amdhsa_enable_private_segment 0
		.amdhsa_system_sgpr_workgroup_id_x 1
		.amdhsa_system_sgpr_workgroup_id_y 0
		.amdhsa_system_sgpr_workgroup_id_z 0
		.amdhsa_system_sgpr_workgroup_info 0
		.amdhsa_system_vgpr_workitem_id 0
		.amdhsa_next_free_vgpr 17
		.amdhsa_next_free_sgpr 8
		.amdhsa_accum_offset 20
		.amdhsa_reserve_vcc 1
		.amdhsa_float_round_mode_32 0
		.amdhsa_float_round_mode_16_64 0
		.amdhsa_float_denorm_mode_32 3
		.amdhsa_float_denorm_mode_16_64 3
		.amdhsa_dx10_clamp 1
		.amdhsa_ieee_mode 1
		.amdhsa_fp16_overflow 0
		.amdhsa_tg_split 0
		.amdhsa_exception_fp_ieee_invalid_op 0
		.amdhsa_exception_fp_denorm_src 0
		.amdhsa_exception_fp_ieee_div_zero 0
		.amdhsa_exception_fp_ieee_overflow 0
		.amdhsa_exception_fp_ieee_underflow 0
		.amdhsa_exception_fp_ieee_inexact 0
		.amdhsa_exception_int_div_zero 0
	.end_amdhsa_kernel
	.section	.text._ZN7rocprim17ROCPRIM_304000_NS6detail45device_block_merge_mergepath_partition_kernelINS1_37wrapped_merge_sort_block_merge_configINS0_14default_configEiN2at4cuda3cub6detail10OpaqueTypeILi2EEEEEPijNS1_19radix_merge_compareILb1ELb1EiNS0_19identity_decomposerEEEEEvT0_T1_jPSH_T2_SH_,"axG",@progbits,_ZN7rocprim17ROCPRIM_304000_NS6detail45device_block_merge_mergepath_partition_kernelINS1_37wrapped_merge_sort_block_merge_configINS0_14default_configEiN2at4cuda3cub6detail10OpaqueTypeILi2EEEEEPijNS1_19radix_merge_compareILb1ELb1EiNS0_19identity_decomposerEEEEEvT0_T1_jPSH_T2_SH_,comdat
.Lfunc_end7:
	.size	_ZN7rocprim17ROCPRIM_304000_NS6detail45device_block_merge_mergepath_partition_kernelINS1_37wrapped_merge_sort_block_merge_configINS0_14default_configEiN2at4cuda3cub6detail10OpaqueTypeILi2EEEEEPijNS1_19radix_merge_compareILb1ELb1EiNS0_19identity_decomposerEEEEEvT0_T1_jPSH_T2_SH_, .Lfunc_end7-_ZN7rocprim17ROCPRIM_304000_NS6detail45device_block_merge_mergepath_partition_kernelINS1_37wrapped_merge_sort_block_merge_configINS0_14default_configEiN2at4cuda3cub6detail10OpaqueTypeILi2EEEEEPijNS1_19radix_merge_compareILb1ELb1EiNS0_19identity_decomposerEEEEEvT0_T1_jPSH_T2_SH_
                                        ; -- End function
	.set _ZN7rocprim17ROCPRIM_304000_NS6detail45device_block_merge_mergepath_partition_kernelINS1_37wrapped_merge_sort_block_merge_configINS0_14default_configEiN2at4cuda3cub6detail10OpaqueTypeILi2EEEEEPijNS1_19radix_merge_compareILb1ELb1EiNS0_19identity_decomposerEEEEEvT0_T1_jPSH_T2_SH_.num_vgpr, 17
	.set _ZN7rocprim17ROCPRIM_304000_NS6detail45device_block_merge_mergepath_partition_kernelINS1_37wrapped_merge_sort_block_merge_configINS0_14default_configEiN2at4cuda3cub6detail10OpaqueTypeILi2EEEEEPijNS1_19radix_merge_compareILb1ELb1EiNS0_19identity_decomposerEEEEEvT0_T1_jPSH_T2_SH_.num_agpr, 0
	.set _ZN7rocprim17ROCPRIM_304000_NS6detail45device_block_merge_mergepath_partition_kernelINS1_37wrapped_merge_sort_block_merge_configINS0_14default_configEiN2at4cuda3cub6detail10OpaqueTypeILi2EEEEEPijNS1_19radix_merge_compareILb1ELb1EiNS0_19identity_decomposerEEEEEvT0_T1_jPSH_T2_SH_.numbered_sgpr, 8
	.set _ZN7rocprim17ROCPRIM_304000_NS6detail45device_block_merge_mergepath_partition_kernelINS1_37wrapped_merge_sort_block_merge_configINS0_14default_configEiN2at4cuda3cub6detail10OpaqueTypeILi2EEEEEPijNS1_19radix_merge_compareILb1ELb1EiNS0_19identity_decomposerEEEEEvT0_T1_jPSH_T2_SH_.num_named_barrier, 0
	.set _ZN7rocprim17ROCPRIM_304000_NS6detail45device_block_merge_mergepath_partition_kernelINS1_37wrapped_merge_sort_block_merge_configINS0_14default_configEiN2at4cuda3cub6detail10OpaqueTypeILi2EEEEEPijNS1_19radix_merge_compareILb1ELb1EiNS0_19identity_decomposerEEEEEvT0_T1_jPSH_T2_SH_.private_seg_size, 0
	.set _ZN7rocprim17ROCPRIM_304000_NS6detail45device_block_merge_mergepath_partition_kernelINS1_37wrapped_merge_sort_block_merge_configINS0_14default_configEiN2at4cuda3cub6detail10OpaqueTypeILi2EEEEEPijNS1_19radix_merge_compareILb1ELb1EiNS0_19identity_decomposerEEEEEvT0_T1_jPSH_T2_SH_.uses_vcc, 1
	.set _ZN7rocprim17ROCPRIM_304000_NS6detail45device_block_merge_mergepath_partition_kernelINS1_37wrapped_merge_sort_block_merge_configINS0_14default_configEiN2at4cuda3cub6detail10OpaqueTypeILi2EEEEEPijNS1_19radix_merge_compareILb1ELb1EiNS0_19identity_decomposerEEEEEvT0_T1_jPSH_T2_SH_.uses_flat_scratch, 0
	.set _ZN7rocprim17ROCPRIM_304000_NS6detail45device_block_merge_mergepath_partition_kernelINS1_37wrapped_merge_sort_block_merge_configINS0_14default_configEiN2at4cuda3cub6detail10OpaqueTypeILi2EEEEEPijNS1_19radix_merge_compareILb1ELb1EiNS0_19identity_decomposerEEEEEvT0_T1_jPSH_T2_SH_.has_dyn_sized_stack, 0
	.set _ZN7rocprim17ROCPRIM_304000_NS6detail45device_block_merge_mergepath_partition_kernelINS1_37wrapped_merge_sort_block_merge_configINS0_14default_configEiN2at4cuda3cub6detail10OpaqueTypeILi2EEEEEPijNS1_19radix_merge_compareILb1ELb1EiNS0_19identity_decomposerEEEEEvT0_T1_jPSH_T2_SH_.has_recursion, 0
	.set _ZN7rocprim17ROCPRIM_304000_NS6detail45device_block_merge_mergepath_partition_kernelINS1_37wrapped_merge_sort_block_merge_configINS0_14default_configEiN2at4cuda3cub6detail10OpaqueTypeILi2EEEEEPijNS1_19radix_merge_compareILb1ELb1EiNS0_19identity_decomposerEEEEEvT0_T1_jPSH_T2_SH_.has_indirect_call, 0
	.section	.AMDGPU.csdata,"",@progbits
; Kernel info:
; codeLenInByte = 332
; TotalNumSgprs: 14
; NumVgprs: 17
; NumAgprs: 0
; TotalNumVgprs: 17
; ScratchSize: 0
; MemoryBound: 0
; FloatMode: 240
; IeeeMode: 1
; LDSByteSize: 0 bytes/workgroup (compile time only)
; SGPRBlocks: 1
; VGPRBlocks: 2
; NumSGPRsForWavesPerEU: 14
; NumVGPRsForWavesPerEU: 17
; AccumOffset: 20
; Occupancy: 8
; WaveLimiterHint : 0
; COMPUTE_PGM_RSRC2:SCRATCH_EN: 0
; COMPUTE_PGM_RSRC2:USER_SGPR: 2
; COMPUTE_PGM_RSRC2:TRAP_HANDLER: 0
; COMPUTE_PGM_RSRC2:TGID_X_EN: 1
; COMPUTE_PGM_RSRC2:TGID_Y_EN: 0
; COMPUTE_PGM_RSRC2:TGID_Z_EN: 0
; COMPUTE_PGM_RSRC2:TIDIG_COMP_CNT: 0
; COMPUTE_PGM_RSRC3_GFX90A:ACCUM_OFFSET: 4
; COMPUTE_PGM_RSRC3_GFX90A:TG_SPLIT: 0
	.section	.text._ZN7rocprim17ROCPRIM_304000_NS6detail35device_block_merge_mergepath_kernelINS1_37wrapped_merge_sort_block_merge_configINS0_14default_configEiN2at4cuda3cub6detail10OpaqueTypeILi2EEEEEPiSC_PSA_SD_jNS1_19radix_merge_compareILb1ELb1EiNS0_19identity_decomposerEEEEEvT0_T1_T2_T3_T4_SL_jT5_PKSL_NS1_7vsmem_tE,"axG",@progbits,_ZN7rocprim17ROCPRIM_304000_NS6detail35device_block_merge_mergepath_kernelINS1_37wrapped_merge_sort_block_merge_configINS0_14default_configEiN2at4cuda3cub6detail10OpaqueTypeILi2EEEEEPiSC_PSA_SD_jNS1_19radix_merge_compareILb1ELb1EiNS0_19identity_decomposerEEEEEvT0_T1_T2_T3_T4_SL_jT5_PKSL_NS1_7vsmem_tE,comdat
	.protected	_ZN7rocprim17ROCPRIM_304000_NS6detail35device_block_merge_mergepath_kernelINS1_37wrapped_merge_sort_block_merge_configINS0_14default_configEiN2at4cuda3cub6detail10OpaqueTypeILi2EEEEEPiSC_PSA_SD_jNS1_19radix_merge_compareILb1ELb1EiNS0_19identity_decomposerEEEEEvT0_T1_T2_T3_T4_SL_jT5_PKSL_NS1_7vsmem_tE ; -- Begin function _ZN7rocprim17ROCPRIM_304000_NS6detail35device_block_merge_mergepath_kernelINS1_37wrapped_merge_sort_block_merge_configINS0_14default_configEiN2at4cuda3cub6detail10OpaqueTypeILi2EEEEEPiSC_PSA_SD_jNS1_19radix_merge_compareILb1ELb1EiNS0_19identity_decomposerEEEEEvT0_T1_T2_T3_T4_SL_jT5_PKSL_NS1_7vsmem_tE
	.globl	_ZN7rocprim17ROCPRIM_304000_NS6detail35device_block_merge_mergepath_kernelINS1_37wrapped_merge_sort_block_merge_configINS0_14default_configEiN2at4cuda3cub6detail10OpaqueTypeILi2EEEEEPiSC_PSA_SD_jNS1_19radix_merge_compareILb1ELb1EiNS0_19identity_decomposerEEEEEvT0_T1_T2_T3_T4_SL_jT5_PKSL_NS1_7vsmem_tE
	.p2align	8
	.type	_ZN7rocprim17ROCPRIM_304000_NS6detail35device_block_merge_mergepath_kernelINS1_37wrapped_merge_sort_block_merge_configINS0_14default_configEiN2at4cuda3cub6detail10OpaqueTypeILi2EEEEEPiSC_PSA_SD_jNS1_19radix_merge_compareILb1ELb1EiNS0_19identity_decomposerEEEEEvT0_T1_T2_T3_T4_SL_jT5_PKSL_NS1_7vsmem_tE,@function
_ZN7rocprim17ROCPRIM_304000_NS6detail35device_block_merge_mergepath_kernelINS1_37wrapped_merge_sort_block_merge_configINS0_14default_configEiN2at4cuda3cub6detail10OpaqueTypeILi2EEEEEPiSC_PSA_SD_jNS1_19radix_merge_compareILb1ELb1EiNS0_19identity_decomposerEEEEEvT0_T1_T2_T3_T4_SL_jT5_PKSL_NS1_7vsmem_tE: ; @_ZN7rocprim17ROCPRIM_304000_NS6detail35device_block_merge_mergepath_kernelINS1_37wrapped_merge_sort_block_merge_configINS0_14default_configEiN2at4cuda3cub6detail10OpaqueTypeILi2EEEEEPiSC_PSA_SD_jNS1_19radix_merge_compareILb1ELb1EiNS0_19identity_decomposerEEEEEvT0_T1_T2_T3_T4_SL_jT5_PKSL_NS1_7vsmem_tE
; %bb.0:
	s_load_dwordx2 s[28:29], s[0:1], 0x40
	s_load_dwordx4 s[16:19], s[0:1], 0x20
	s_add_u32 s26, s0, 64
	s_addc_u32 s27, s1, 0
	s_waitcnt lgkmcnt(0)
	s_mul_i32 s4, s29, s4
	s_add_i32 s3, s4, s3
	s_mul_i32 s3, s3, s28
	s_add_i32 s6, s3, s2
	s_cmp_ge_u32 s6, s18
	s_cbranch_scc1 .LBB8_69
; %bb.1:
	s_load_dwordx8 s[8:15], s[0:1], 0x0
	s_load_dwordx2 s[4:5], s[0:1], 0x30
	s_lshr_b32 s31, s16, 10
	s_cmp_lg_u32 s6, s31
	s_mov_b32 s7, 0
	s_cselect_b64 s[20:21], -1, 0
	s_lshl_b64 s[0:1], s[6:7], 2
	s_waitcnt lgkmcnt(0)
	s_add_u32 s0, s4, s0
	s_addc_u32 s1, s5, s1
	s_load_dwordx2 s[22:23], s[0:1], 0x0
	s_lshr_b32 s0, s17, 9
	s_and_b32 s0, s0, 0x7ffffe
	s_sub_i32 s0, 0, s0
	s_and_b32 s1, s6, s0
	s_lshl_b32 s3, s1, 10
	s_lshl_b32 s18, s6, 10
	;; [unrolled: 1-line block ×3, first 2 shown]
	s_sub_i32 s4, s18, s3
	s_add_i32 s1, s1, s17
	s_add_i32 s4, s1, s4
	s_waitcnt lgkmcnt(0)
	s_sub_i32 s5, s4, s22
	s_sub_i32 s4, s4, s23
	;; [unrolled: 1-line block ×3, first 2 shown]
	s_min_u32 s24, s16, s5
	s_addk_i32 s4, 0x400
	s_or_b32 s0, s6, s0
	s_min_u32 s3, s16, s1
	s_add_i32 s1, s1, s17
	s_cmp_eq_u32 s0, -1
	s_cselect_b32 s0, s1, s4
	s_cselect_b32 s1, s3, s23
	s_min_u32 s0, s0, s16
	s_mov_b32 s23, s7
	s_sub_i32 s29, s1, s22
	s_sub_i32 s30, s0, s24
	s_lshl_b64 s[0:1], s[22:23], 2
	s_add_u32 s0, s8, s0
	s_mov_b32 s25, s7
	s_addc_u32 s1, s9, s1
	s_lshl_b64 s[4:5], s[24:25], 2
	s_add_u32 s4, s8, s4
	s_addc_u32 s5, s9, s5
	s_cmp_lt_u32 s2, s28
	v_mov_b32_e32 v7, 0
	s_cselect_b32 s2, 12, 18
	global_load_dword v1, v7, s[26:27] offset:14
	s_add_u32 s2, s26, s2
	s_addc_u32 s3, s27, 0
	global_load_ushort v2, v7, s[2:3]
	v_cmp_gt_u32_e32 vcc, s29, v0
	s_cmp_eq_u32 s6, s31
	v_lshlrev_b32_e32 v6, 2, v0
	s_waitcnt vmcnt(1)
	v_lshrrev_b32_e32 v3, 16, v1
	v_and_b32_e32 v1, 0xffff, v1
	v_mul_lo_u32 v1, v1, v3
	s_waitcnt vmcnt(0)
	v_mul_lo_u32 v1, v1, v2
	v_add_u32_e32 v8, v1, v0
	s_cbranch_scc1 .LBB8_3
; %bb.2:
	v_subrev_u32_e32 v4, s29, v0
	v_lshlrev_b32_e32 v4, 2, v4
	v_mov_b32_e32 v5, v7
	v_lshl_add_u64 v[2:3], s[0:1], 0, v[6:7]
	v_lshl_add_u64 v[4:5], s[4:5], 0, v[4:5]
	v_cndmask_b32_e32 v3, v5, v3, vcc
	v_cndmask_b32_e32 v2, v4, v2, vcc
	v_mov_b32_e32 v9, v7
	v_subrev_co_u32_e32 v10, vcc, s29, v8
	v_mov_b32_e32 v11, v7
	v_lshl_add_u64 v[4:5], v[8:9], 2, s[0:1]
	v_lshl_add_u64 v[10:11], v[10:11], 2, s[4:5]
	v_cndmask_b32_e32 v4, v10, v4, vcc
	v_add_u32_e32 v10, v8, v1
	v_cndmask_b32_e32 v5, v11, v5, vcc
	v_mov_b32_e32 v11, v7
	v_subrev_co_u32_e32 v12, vcc, s29, v10
	v_mov_b32_e32 v13, v7
	global_load_dword v2, v[2:3], off
	v_lshl_add_u64 v[12:13], v[12:13], 2, s[4:5]
	global_load_dword v3, v[4:5], off
	v_lshl_add_u64 v[4:5], v[10:11], 2, s[0:1]
	v_add_u32_e32 v10, v10, v1
	v_cndmask_b32_e32 v5, v13, v5, vcc
	v_cndmask_b32_e32 v4, v12, v4, vcc
	v_lshl_add_u64 v[12:13], v[10:11], 2, s[0:1]
	v_subrev_co_u32_e32 v10, vcc, s29, v10
	v_lshl_add_u64 v[10:11], v[10:11], 2, s[4:5]
	s_nop 0
	v_cndmask_b32_e32 v11, v11, v13, vcc
	v_cndmask_b32_e32 v10, v10, v12, vcc
	global_load_dword v4, v[4:5], off
	s_add_i32 s17, s30, s29
	global_load_dword v5, v[10:11], off
	s_cbranch_execz .LBB8_4
	s_branch .LBB8_13
.LBB8_3:
                                        ; implicit-def: $vgpr2_vgpr3_vgpr4_vgpr5
                                        ; implicit-def: $sgpr17
.LBB8_4:
	s_add_i32 s17, s30, s29
	s_waitcnt vmcnt(3)
	v_mov_b32_e32 v2, 0
	v_cmp_gt_u32_e32 vcc, s17, v0
	s_waitcnt vmcnt(2)
	v_mov_b32_e32 v3, v2
	s_waitcnt vmcnt(1)
	v_mov_b32_e32 v4, v2
	;; [unrolled: 2-line block ×3, first 2 shown]
	s_and_saveexec_b64 s[2:3], vcc
	s_cbranch_execz .LBB8_6
; %bb.5:
	v_subrev_u32_e32 v3, s29, v0
	v_mov_b32_e32 v7, v2
	v_lshlrev_b32_e32 v10, 2, v3
	v_mov_b32_e32 v11, v2
	v_lshl_add_u64 v[4:5], s[0:1], 0, v[6:7]
	v_lshl_add_u64 v[10:11], s[4:5], 0, v[10:11]
	v_cmp_gt_u32_e32 vcc, s29, v0
	v_mov_b32_e32 v12, v2
	v_mov_b32_e32 v13, v2
	v_cndmask_b32_e32 v5, v11, v5, vcc
	v_cndmask_b32_e32 v4, v10, v4, vcc
	global_load_dword v10, v[4:5], off
	v_mov_b32_e32 v11, v2
	s_waitcnt vmcnt(0)
	v_mov_b64_e32 v[2:3], v[10:11]
	v_mov_b64_e32 v[4:5], v[12:13]
.LBB8_6:
	s_or_b64 exec, exec, s[2:3]
	v_cmp_gt_u32_e32 vcc, s17, v8
	s_and_saveexec_b64 s[2:3], vcc
	s_cbranch_execz .LBB8_8
; %bb.7:
	v_mov_b32_e32 v9, 0
	v_subrev_co_u32_e32 v12, vcc, s29, v8
	v_mov_b32_e32 v13, v9
	v_lshl_add_u64 v[10:11], v[8:9], 2, s[0:1]
	v_lshl_add_u64 v[12:13], v[12:13], 2, s[4:5]
	v_cndmask_b32_e32 v11, v13, v11, vcc
	v_cndmask_b32_e32 v10, v12, v10, vcc
	global_load_dword v3, v[10:11], off
.LBB8_8:
	s_or_b64 exec, exec, s[2:3]
	v_add_u32_e32 v8, v8, v1
	v_cmp_gt_u32_e32 vcc, s17, v8
	s_and_saveexec_b64 s[2:3], vcc
	s_cbranch_execz .LBB8_10
; %bb.9:
	v_mov_b32_e32 v9, 0
	v_subrev_co_u32_e32 v12, vcc, s29, v8
	v_mov_b32_e32 v13, v9
	v_lshl_add_u64 v[10:11], v[8:9], 2, s[0:1]
	v_lshl_add_u64 v[12:13], v[12:13], 2, s[4:5]
	v_cndmask_b32_e32 v11, v13, v11, vcc
	v_cndmask_b32_e32 v10, v12, v10, vcc
	global_load_dword v4, v[10:11], off
.LBB8_10:
	s_or_b64 exec, exec, s[2:3]
	v_add_u32_e32 v8, v8, v1
	v_cmp_gt_u32_e32 vcc, s17, v8
	s_and_saveexec_b64 s[2:3], vcc
	s_cbranch_execz .LBB8_12
; %bb.11:
	v_mov_b32_e32 v9, 0
	v_lshl_add_u64 v[10:11], v[8:9], 2, s[0:1]
	v_subrev_co_u32_e32 v8, vcc, s29, v8
	v_lshl_add_u64 v[8:9], v[8:9], 2, s[4:5]
	s_nop 0
	v_cndmask_b32_e32 v9, v9, v11, vcc
	v_cndmask_b32_e32 v8, v8, v10, vcc
	global_load_dword v5, v[8:9], off
.LBB8_12:
	s_or_b64 exec, exec, s[2:3]
.LBB8_13:
	v_min_u32_e32 v1, s17, v6
	v_sub_u32_e64 v8, v1, s30 clamp
	v_min_u32_e32 v7, s29, v1
	v_cmp_lt_u32_e32 vcc, v8, v7
	s_waitcnt vmcnt(0)
	ds_write2st64_b32 v6, v2, v3 offset1:4
	ds_write2st64_b32 v6, v4, v5 offset0:8 offset1:12
	s_waitcnt lgkmcnt(0)
	s_barrier
	s_and_saveexec_b64 s[0:1], vcc
	s_cbranch_execz .LBB8_17
; %bb.14:
	v_lshlrev_b32_e32 v9, 2, v1
	v_lshl_add_u32 v9, s29, 2, v9
	s_mov_b64 s[2:3], 0
.LBB8_15:                               ; =>This Inner Loop Header: Depth=1
	v_add_u32_e32 v10, v7, v8
	v_lshrrev_b32_e32 v10, 1, v10
	v_not_b32_e32 v11, v10
	v_lshlrev_b32_e32 v12, 2, v10
	v_lshl_add_u32 v11, v11, 2, v9
	ds_read_b32 v12, v12
	ds_read_b32 v11, v11
	v_add_u32_e32 v13, 1, v10
	s_waitcnt lgkmcnt(1)
	v_and_b32_e32 v12, s19, v12
	s_waitcnt lgkmcnt(0)
	v_and_b32_e32 v11, s19, v11
	v_cmp_gt_i32_e32 vcc, v11, v12
	s_nop 1
	v_cndmask_b32_e32 v7, v7, v10, vcc
	v_cndmask_b32_e32 v8, v13, v8, vcc
	v_cmp_ge_u32_e32 vcc, v8, v7
	s_or_b64 s[2:3], vcc, s[2:3]
	s_andn2_b64 exec, exec, s[2:3]
	s_cbranch_execnz .LBB8_15
; %bb.16:
	s_or_b64 exec, exec, s[2:3]
.LBB8_17:
	s_or_b64 exec, exec, s[0:1]
	v_sub_u32_e32 v1, v1, v8
	v_add_u32_e32 v9, s29, v1
	v_cmp_ge_u32_e32 vcc, s29, v8
	v_cmp_ge_u32_e64 s[0:1], s17, v9
	s_or_b64 s[0:1], vcc, s[0:1]
	v_mov_b32_e32 v1, 0
	v_mov_b32_e32 v7, 0
	;; [unrolled: 1-line block ×4, first 2 shown]
	s_and_saveexec_b64 s[8:9], s[0:1]
	s_cbranch_execz .LBB8_23
; %bb.18:
	v_cmp_gt_u32_e32 vcc, s29, v8
                                        ; implicit-def: $vgpr1
	s_and_saveexec_b64 s[0:1], vcc
; %bb.19:
	v_lshlrev_b32_e32 v1, 2, v8
	ds_read_b32 v1, v1
; %bb.20:
	s_or_b64 exec, exec, s[0:1]
	v_cmp_le_u32_e64 s[0:1], s17, v9
	v_cmp_gt_u32_e64 s[2:3], s17, v9
                                        ; implicit-def: $vgpr2
	s_and_saveexec_b64 s[4:5], s[2:3]
; %bb.21:
	v_lshlrev_b32_e32 v2, 2, v9
	ds_read_b32 v2, v2
; %bb.22:
	s_or_b64 exec, exec, s[4:5]
	s_waitcnt lgkmcnt(0)
	v_and_b32_e32 v3, s19, v2
	v_and_b32_e32 v4, s19, v1
	v_cmp_le_i32_e64 s[2:3], v3, v4
	s_and_b64 s[2:3], vcc, s[2:3]
	s_or_b64 vcc, s[0:1], s[2:3]
	v_mov_b32_e32 v3, s17
	v_mov_b32_e32 v4, s29
	v_cndmask_b32_e32 v15, v9, v8, vcc
	v_cndmask_b32_e32 v5, v3, v4, vcc
	v_add_u32_e32 v7, 1, v15
	v_add_u32_e32 v5, -1, v5
	v_min_u32_e32 v5, v7, v5
	v_lshlrev_b32_e32 v5, 2, v5
	ds_read_b32 v5, v5
	v_cndmask_b32_e32 v9, v7, v9, vcc
	v_cndmask_b32_e32 v7, v8, v7, vcc
	v_cmp_gt_u32_e64 s[2:3], s29, v7
	v_cmp_le_u32_e64 s[0:1], s17, v9
	s_waitcnt lgkmcnt(0)
	v_cndmask_b32_e32 v10, v5, v2, vcc
	v_cndmask_b32_e32 v5, v1, v5, vcc
	v_and_b32_e32 v8, s19, v10
	v_and_b32_e32 v11, s19, v5
	v_cmp_le_i32_e64 s[4:5], v8, v11
	s_and_b64 s[2:3], s[2:3], s[4:5]
	s_or_b64 s[0:1], s[0:1], s[2:3]
	v_cndmask_b32_e64 v14, v9, v7, s[0:1]
	v_cndmask_b32_e64 v8, v3, v4, s[0:1]
	v_add_u32_e32 v11, 1, v14
	v_add_u32_e32 v8, -1, v8
	v_min_u32_e32 v8, v11, v8
	v_lshlrev_b32_e32 v8, 2, v8
	ds_read_b32 v8, v8
	v_cndmask_b32_e64 v9, v11, v9, s[0:1]
	v_cndmask_b32_e64 v11, v7, v11, s[0:1]
	v_cmp_gt_u32_e64 s[4:5], s29, v11
	v_cmp_le_u32_e64 s[2:3], s17, v9
	s_waitcnt lgkmcnt(0)
	v_cndmask_b32_e64 v12, v8, v10, s[0:1]
	v_cndmask_b32_e64 v8, v5, v8, s[0:1]
	v_and_b32_e32 v7, s19, v12
	v_and_b32_e32 v13, s19, v8
	v_cmp_le_i32_e64 s[6:7], v7, v13
	s_and_b64 s[4:5], s[4:5], s[6:7]
	s_or_b64 s[2:3], s[2:3], s[4:5]
	v_cndmask_b32_e64 v7, v9, v11, s[2:3]
	v_cndmask_b32_e64 v3, v3, v4, s[2:3]
	v_add_u32_e32 v13, 1, v7
	v_add_u32_e32 v3, -1, v3
	v_min_u32_e32 v3, v13, v3
	v_lshlrev_b32_e32 v3, 2, v3
	ds_read_b32 v16, v3
	v_cndmask_b32_e64 v3, v10, v5, s[0:1]
	v_cndmask_b32_e64 v4, v12, v8, s[2:3]
	v_cndmask_b32_e32 v2, v2, v1, vcc
	v_cndmask_b32_e64 v1, v13, v9, s[2:3]
	s_waitcnt lgkmcnt(0)
	v_cndmask_b32_e64 v5, v16, v12, s[2:3]
	v_cndmask_b32_e64 v8, v8, v16, s[2:3]
	;; [unrolled: 1-line block ×3, first 2 shown]
	v_and_b32_e32 v10, s19, v5
	v_and_b32_e32 v11, s19, v8
	v_cmp_gt_u32_e64 s[0:1], s29, v9
	v_cmp_le_i32_e64 s[2:3], v10, v11
	v_cmp_le_u32_e32 vcc, s17, v1
	s_and_b64 s[0:1], s[0:1], s[2:3]
	s_or_b64 vcc, vcc, s[0:1]
	v_cndmask_b32_e32 v1, v1, v9, vcc
	v_cndmask_b32_e32 v5, v5, v8, vcc
.LBB8_23:
	s_or_b64 exec, exec, s[8:9]
	s_lshl_b64 s[0:1], s[22:23], 1
	s_add_u32 s8, s12, s0
	s_addc_u32 s9, s13, s1
	s_lshl_b64 s[0:1], s[24:25], 1
	s_add_u32 s6, s12, s0
	v_cndmask_b32_e64 v8, 0, 1, s[20:21]
	v_mov_b32_e32 v9, 0
	s_addc_u32 s7, s13, s1
	v_cmp_gt_u32_e64 s[4:5], s29, v0
	v_cmp_le_u32_e64 s[2:3], s29, v0
	v_cmp_ne_u32_e64 s[0:1], 1, v8
	s_andn2_b64 vcc, exec, s[20:21]
	v_lshlrev_b32_e32 v8, 1, v0
	s_barrier
	s_cbranch_vccnz .LBB8_25
; %bb.24:
	v_subrev_u32_e32 v12, s29, v0
	v_lshlrev_b32_e32 v12, 1, v12
	v_mov_b32_e32 v13, v9
	v_lshl_add_u64 v[10:11], s[8:9], 0, v[8:9]
	v_lshl_add_u64 v[12:13], s[6:7], 0, v[12:13]
	v_cndmask_b32_e64 v11, v13, v11, s[4:5]
	v_cndmask_b32_e64 v10, v12, v10, s[4:5]
	global_load_ushort v16, v[10:11], off
	v_or_b32_e32 v10, 0x100, v0
	v_subrev_u32_e32 v11, s29, v10
	v_min_u32_e32 v12, v10, v11
	v_mov_b32_e32 v17, s7
	v_mov_b32_e32 v18, s9
	v_cmp_gt_u32_e32 vcc, s29, v10
	v_mov_b32_e32 v19, s6
	v_mov_b32_e32 v20, s8
	v_cndmask_b32_e32 v11, v17, v18, vcc
	v_cndmask_b32_e32 v10, v19, v20, vcc
	v_lshlrev_b32_e32 v12, 1, v12
	v_mov_b32_e32 v13, v9
	v_lshl_add_u64 v[10:11], v[10:11], 0, v[12:13]
	global_load_ushort v21, v[10:11], off
	v_or_b32_e32 v10, 0x200, v0
	v_subrev_u32_e32 v11, s29, v10
	v_min_u32_e32 v12, v10, v11
	v_cmp_gt_u32_e32 vcc, s29, v10
	v_lshlrev_b32_e32 v12, 1, v12
	v_or_b32_e32 v9, 0x300, v0
	v_cndmask_b32_e32 v11, v17, v18, vcc
	v_cndmask_b32_e32 v10, v19, v20, vcc
	v_lshl_add_u64 v[10:11], v[10:11], 0, v[12:13]
	global_load_ushort v13, v[10:11], off
	v_subrev_u32_e32 v10, s29, v9
	v_cmp_gt_u32_e32 vcc, s29, v9
	v_min_u32_e32 v12, v9, v10
	s_nop 0
	v_cndmask_b32_e32 v11, v17, v18, vcc
	v_cndmask_b32_e32 v10, v19, v20, vcc
	s_mov_b64 s[4:5], -1
	s_waitcnt vmcnt(2)
	ds_write_b16 v8, v16
	s_waitcnt vmcnt(1)
	ds_write_b16 v8, v21 offset:512
	s_waitcnt vmcnt(0)
	ds_write_b16 v8, v13 offset:1024
	s_cbranch_execz .LBB8_26
	s_branch .LBB8_43
.LBB8_25:
	s_mov_b64 s[4:5], 0
                                        ; implicit-def: $vgpr9
                                        ; implicit-def: $vgpr10_vgpr11
                                        ; implicit-def: $vgpr12
.LBB8_26:
	s_and_saveexec_b64 s[4:5], s[2:3]
	s_xor_b64 s[2:3], exec, s[4:5]
	s_cbranch_execz .LBB8_30
; %bb.27:
	v_subrev_u32_e32 v9, s29, v0
	v_cmp_gt_u32_e32 vcc, s30, v9
	s_and_saveexec_b64 s[4:5], vcc
	s_cbranch_execz .LBB8_29
; %bb.28:
	v_lshlrev_b32_e32 v9, 1, v9
	global_load_ushort v9, v9, s[6:7]
	v_sub_u32_e32 v10, v6, v8
	s_waitcnt vmcnt(0)
	ds_write_b16 v10, v9
.LBB8_29:
	s_or_b64 exec, exec, s[4:5]
.LBB8_30:
	s_andn2_saveexec_b64 s[2:3], s[2:3]
	s_cbranch_execz .LBB8_32
; %bb.31:
	global_load_ushort v9, v8, s[8:9]
	v_sub_u32_e32 v10, v6, v8
	s_waitcnt vmcnt(0)
	ds_write_b16 v10, v9
.LBB8_32:
	s_or_b64 exec, exec, s[2:3]
	v_or_b32_e32 v9, 0x100, v0
	v_cmp_le_u32_e32 vcc, s29, v9
	s_mov_b64 s[2:3], -1
	v_mov_b64_e32 v[10:11], s[22:23]
	s_and_saveexec_b64 s[4:5], vcc
; %bb.33:
	v_subrev_u32_e32 v9, s29, v9
	v_cmp_gt_u32_e32 vcc, s30, v9
	v_mov_b64_e32 v[10:11], s[24:25]
	s_orn2_b64 s[2:3], vcc, exec
; %bb.34:
	s_or_b64 exec, exec, s[4:5]
	s_and_saveexec_b64 s[4:5], s[2:3]
	s_cbranch_execz .LBB8_36
; %bb.35:
	v_lshl_add_u64 v[10:11], v[10:11], 1, s[12:13]
	v_lshlrev_b32_e32 v12, 1, v9
	v_mov_b32_e32 v13, 0
	v_lshl_add_u64 v[10:11], v[10:11], 0, v[12:13]
	global_load_ushort v9, v[10:11], off
	v_sub_u32_e32 v10, v6, v8
	s_waitcnt vmcnt(0)
	ds_write_b16 v10, v9 offset:512
.LBB8_36:
	s_or_b64 exec, exec, s[4:5]
	v_or_b32_e32 v9, 0x200, v0
	v_cmp_le_u32_e32 vcc, s29, v9
	s_mov_b64 s[2:3], -1
	v_mov_b64_e32 v[10:11], s[22:23]
	s_and_saveexec_b64 s[4:5], vcc
; %bb.37:
	v_subrev_u32_e32 v9, s29, v9
	v_cmp_gt_u32_e32 vcc, s30, v9
	v_mov_b64_e32 v[10:11], s[24:25]
	s_orn2_b64 s[2:3], vcc, exec
; %bb.38:
	s_or_b64 exec, exec, s[4:5]
	s_and_saveexec_b64 s[4:5], s[2:3]
	s_cbranch_execz .LBB8_40
; %bb.39:
	v_lshl_add_u64 v[10:11], v[10:11], 1, s[12:13]
	v_lshlrev_b32_e32 v12, 1, v9
	v_mov_b32_e32 v13, 0
	v_lshl_add_u64 v[10:11], v[10:11], 0, v[12:13]
	global_load_ushort v9, v[10:11], off
	v_sub_u32_e32 v8, v6, v8
	s_waitcnt vmcnt(0)
	ds_write_b16 v8, v9 offset:1024
.LBB8_40:
	s_or_b64 exec, exec, s[4:5]
	v_or_b32_e32 v9, 0x300, v0
	v_cmp_le_u32_e32 vcc, s29, v9
	s_mov_b64 s[4:5], -1
	v_mov_b64_e32 v[10:11], s[8:9]
	v_mov_b32_e32 v12, v9
	s_and_saveexec_b64 s[2:3], vcc
; %bb.41:
	v_subrev_u32_e32 v12, s29, v9
	v_cmp_gt_u32_e32 vcc, s30, v12
	v_mov_b64_e32 v[10:11], s[6:7]
	s_orn2_b64 s[4:5], vcc, exec
; %bb.42:
	s_or_b64 exec, exec, s[2:3]
.LBB8_43:
	s_and_saveexec_b64 s[2:3], s[4:5]
	s_cbranch_execz .LBB8_45
; %bb.44:
	v_mov_b32_e32 v13, 0
	v_lshl_add_u64 v[10:11], v[12:13], 1, v[10:11]
	global_load_ushort v8, v[10:11], off
	v_lshlrev_b32_e32 v9, 1, v9
	s_waitcnt vmcnt(0)
	ds_write_b16 v9, v8
.LBB8_45:
	s_or_b64 exec, exec, s[2:3]
	s_and_b64 vcc, exec, s[0:1]
	v_add_u32_e32 v8, s18, v6
	s_waitcnt lgkmcnt(0)
	s_barrier
	s_cbranch_vccnz .LBB8_47
; %bb.46:
	v_lshlrev_b32_e32 v9, 1, v15
	v_lshlrev_b32_e32 v10, 1, v14
	;; [unrolled: 1-line block ×3, first 2 shown]
	ds_read_u16 v12, v9
	ds_read_u16 v13, v10
	;; [unrolled: 1-line block ×3, first 2 shown]
	v_mov_b32_e32 v9, 0
	s_mov_b32 s0, 0x5040100
	v_lshl_add_u64 v[10:11], v[8:9], 1, s[14:15]
	s_waitcnt lgkmcnt(1)
	v_perm_b32 v12, v13, v12, s0
	s_mov_b64 s[0:1], -1
	s_waitcnt lgkmcnt(0)
	global_store_short v[10:11], v16, off offset:4
	global_store_dword v[10:11], v12, off
	s_cbranch_execz .LBB8_48
	s_branch .LBB8_57
.LBB8_47:
	s_mov_b64 s[0:1], 0
.LBB8_48:
	v_cmp_gt_u32_e32 vcc, s17, v6
	s_and_saveexec_b64 s[2:3], vcc
	s_cbranch_execz .LBB8_50
; %bb.49:
	v_lshlrev_b32_e32 v9, 1, v15
	ds_read_u16 v12, v9
	v_mov_b32_e32 v9, 0
	v_lshl_add_u64 v[10:11], v[8:9], 1, s[14:15]
	s_waitcnt lgkmcnt(0)
	global_store_short v[10:11], v12, off
.LBB8_50:
	s_or_b64 exec, exec, s[2:3]
	v_or_b32_e32 v9, 1, v6
	v_cmp_gt_u32_e32 vcc, s17, v9
	s_and_saveexec_b64 s[2:3], vcc
	s_cbranch_execz .LBB8_52
; %bb.51:
	v_lshlrev_b32_e32 v9, 1, v14
	ds_read_u16 v12, v9
	v_mov_b32_e32 v9, 0
	v_lshl_add_u64 v[10:11], v[8:9], 1, s[14:15]
	s_waitcnt lgkmcnt(0)
	global_store_short v[10:11], v12, off offset:2
.LBB8_52:
	s_or_b64 exec, exec, s[2:3]
	v_or_b32_e32 v9, 2, v6
	v_cmp_gt_u32_e32 vcc, s17, v9
	s_and_saveexec_b64 s[2:3], vcc
	s_cbranch_execz .LBB8_54
; %bb.53:
	v_lshlrev_b32_e32 v7, 1, v7
	ds_read_u16 v7, v7
	v_mov_b32_e32 v9, 0
	v_lshl_add_u64 v[10:11], v[8:9], 1, s[14:15]
	s_waitcnt lgkmcnt(0)
	global_store_short v[10:11], v7, off offset:4
.LBB8_54:
	s_or_b64 exec, exec, s[2:3]
	v_or_b32_e32 v7, 3, v6
	v_cmp_gt_u32_e32 vcc, s17, v7
	s_and_saveexec_b64 s[2:3], vcc
; %bb.55:
	v_mov_b32_e32 v9, 0
	s_or_b64 s[0:1], s[0:1], exec
; %bb.56:
	s_or_b64 exec, exec, s[2:3]
.LBB8_57:
	s_and_saveexec_b64 s[2:3], s[0:1]
	s_cbranch_execz .LBB8_59
; %bb.58:
	v_lshlrev_b32_e32 v1, 1, v1
	ds_read_u16 v1, v1
	v_lshl_add_u64 v[8:9], v[8:9], 1, s[14:15]
	s_waitcnt lgkmcnt(0)
	global_store_short v[8:9], v1, off offset:6
.LBB8_59:
	s_or_b64 exec, exec, s[2:3]
	v_lshrrev_b32_e32 v1, 3, v0
	v_lshlrev_b32_e32 v7, 2, v6
	v_lshl_add_u32 v7, v1, 2, v7
	s_barrier
	s_barrier
	ds_write2_b32 v7, v2, v3 offset1:1
	ds_write2_b32 v7, v4, v5 offset0:2 offset1:3
	v_and_b32_e32 v1, 28, v1
	v_or_b32_e32 v5, 0x100, v0
	v_add_u32_e32 v8, v1, v6
	v_lshrrev_b32_e32 v1, 3, v5
	v_and_b32_e32 v1, 60, v1
	v_or_b32_e32 v4, 0x200, v0
	v_add_u32_e32 v9, v1, v6
	v_lshrrev_b32_e32 v1, 3, v4
	s_mov_b32 s19, 0
	v_and_b32_e32 v1, 0x5c, v1
	s_lshl_b64 s[0:1], s[18:19], 2
	v_add_u32_e32 v10, v1, v6
	v_or_b32_e32 v1, 0x300, v0
	s_add_u32 s0, s10, s0
	v_lshrrev_b32_e32 v2, 3, v1
	s_addc_u32 s1, s11, s1
	v_and_b32_e32 v2, 0x7c, v2
	v_mov_b32_e32 v7, 0
	v_add_u32_e32 v11, v2, v6
	v_lshl_add_u64 v[2:3], s[0:1], 0, v[6:7]
	s_and_b64 vcc, exec, s[20:21]
	s_waitcnt lgkmcnt(0)
	s_cbranch_vccz .LBB8_61
; %bb.60:
	s_barrier
	ds_read_b32 v6, v8
	ds_read_b32 v7, v9 offset:1024
	ds_read_b32 v13, v10 offset:2048
	;; [unrolled: 1-line block ×3, first 2 shown]
	s_waitcnt lgkmcnt(3)
	global_store_dword v[2:3], v6, off
	s_waitcnt lgkmcnt(2)
	global_store_dword v[2:3], v7, off offset:1024
	s_waitcnt lgkmcnt(1)
	global_store_dword v[2:3], v13, off offset:2048
	s_mov_b64 s[0:1], -1
	s_cbranch_execz .LBB8_62
	s_branch .LBB8_67
.LBB8_61:
	s_mov_b64 s[0:1], 0
                                        ; implicit-def: $vgpr12
.LBB8_62:
	s_barrier
	s_waitcnt lgkmcnt(0)
	ds_read_b32 v7, v9 offset:1024
	ds_read_b32 v6, v10 offset:2048
	ds_read_b32 v12, v11 offset:3072
	s_sub_i32 s2, s16, s18
	v_cmp_gt_u32_e32 vcc, s2, v0
	s_and_saveexec_b64 s[0:1], vcc
	s_cbranch_execnz .LBB8_70
; %bb.63:
	s_or_b64 exec, exec, s[0:1]
	v_cmp_gt_u32_e32 vcc, s2, v5
	s_and_saveexec_b64 s[0:1], vcc
	s_cbranch_execnz .LBB8_71
.LBB8_64:
	s_or_b64 exec, exec, s[0:1]
	v_cmp_gt_u32_e32 vcc, s2, v4
	s_and_saveexec_b64 s[0:1], vcc
	s_cbranch_execz .LBB8_66
.LBB8_65:
	s_waitcnt lgkmcnt(1)
	global_store_dword v[2:3], v6, off offset:2048
.LBB8_66:
	s_or_b64 exec, exec, s[0:1]
	v_cmp_gt_u32_e64 s[0:1], s2, v1
.LBB8_67:
	s_and_saveexec_b64 s[2:3], s[0:1]
	s_cbranch_execz .LBB8_69
; %bb.68:
	s_waitcnt lgkmcnt(0)
	global_store_dword v[2:3], v12, off offset:3072
.LBB8_69:
	s_endpgm
.LBB8_70:
	ds_read_b32 v0, v8
	s_waitcnt lgkmcnt(0)
	global_store_dword v[2:3], v0, off
	s_or_b64 exec, exec, s[0:1]
	v_cmp_gt_u32_e32 vcc, s2, v5
	s_and_saveexec_b64 s[0:1], vcc
	s_cbranch_execz .LBB8_64
.LBB8_71:
	s_waitcnt lgkmcnt(2)
	global_store_dword v[2:3], v7, off offset:1024
	s_or_b64 exec, exec, s[0:1]
	v_cmp_gt_u32_e32 vcc, s2, v4
	s_and_saveexec_b64 s[0:1], vcc
	s_cbranch_execnz .LBB8_65
	s_branch .LBB8_66
	.section	.rodata,"a",@progbits
	.p2align	6, 0x0
	.amdhsa_kernel _ZN7rocprim17ROCPRIM_304000_NS6detail35device_block_merge_mergepath_kernelINS1_37wrapped_merge_sort_block_merge_configINS0_14default_configEiN2at4cuda3cub6detail10OpaqueTypeILi2EEEEEPiSC_PSA_SD_jNS1_19radix_merge_compareILb1ELb1EiNS0_19identity_decomposerEEEEEvT0_T1_T2_T3_T4_SL_jT5_PKSL_NS1_7vsmem_tE
		.amdhsa_group_segment_fixed_size 4224
		.amdhsa_private_segment_fixed_size 0
		.amdhsa_kernarg_size 320
		.amdhsa_user_sgpr_count 2
		.amdhsa_user_sgpr_dispatch_ptr 0
		.amdhsa_user_sgpr_queue_ptr 0
		.amdhsa_user_sgpr_kernarg_segment_ptr 1
		.amdhsa_user_sgpr_dispatch_id 0
		.amdhsa_user_sgpr_kernarg_preload_length 0
		.amdhsa_user_sgpr_kernarg_preload_offset 0
		.amdhsa_user_sgpr_private_segment_size 0
		.amdhsa_uses_dynamic_stack 0
		.amdhsa_enable_private_segment 0
		.amdhsa_system_sgpr_workgroup_id_x 1
		.amdhsa_system_sgpr_workgroup_id_y 1
		.amdhsa_system_sgpr_workgroup_id_z 1
		.amdhsa_system_sgpr_workgroup_info 0
		.amdhsa_system_vgpr_workitem_id 0
		.amdhsa_next_free_vgpr 22
		.amdhsa_next_free_sgpr 32
		.amdhsa_accum_offset 24
		.amdhsa_reserve_vcc 1
		.amdhsa_float_round_mode_32 0
		.amdhsa_float_round_mode_16_64 0
		.amdhsa_float_denorm_mode_32 3
		.amdhsa_float_denorm_mode_16_64 3
		.amdhsa_dx10_clamp 1
		.amdhsa_ieee_mode 1
		.amdhsa_fp16_overflow 0
		.amdhsa_tg_split 0
		.amdhsa_exception_fp_ieee_invalid_op 0
		.amdhsa_exception_fp_denorm_src 0
		.amdhsa_exception_fp_ieee_div_zero 0
		.amdhsa_exception_fp_ieee_overflow 0
		.amdhsa_exception_fp_ieee_underflow 0
		.amdhsa_exception_fp_ieee_inexact 0
		.amdhsa_exception_int_div_zero 0
	.end_amdhsa_kernel
	.section	.text._ZN7rocprim17ROCPRIM_304000_NS6detail35device_block_merge_mergepath_kernelINS1_37wrapped_merge_sort_block_merge_configINS0_14default_configEiN2at4cuda3cub6detail10OpaqueTypeILi2EEEEEPiSC_PSA_SD_jNS1_19radix_merge_compareILb1ELb1EiNS0_19identity_decomposerEEEEEvT0_T1_T2_T3_T4_SL_jT5_PKSL_NS1_7vsmem_tE,"axG",@progbits,_ZN7rocprim17ROCPRIM_304000_NS6detail35device_block_merge_mergepath_kernelINS1_37wrapped_merge_sort_block_merge_configINS0_14default_configEiN2at4cuda3cub6detail10OpaqueTypeILi2EEEEEPiSC_PSA_SD_jNS1_19radix_merge_compareILb1ELb1EiNS0_19identity_decomposerEEEEEvT0_T1_T2_T3_T4_SL_jT5_PKSL_NS1_7vsmem_tE,comdat
.Lfunc_end8:
	.size	_ZN7rocprim17ROCPRIM_304000_NS6detail35device_block_merge_mergepath_kernelINS1_37wrapped_merge_sort_block_merge_configINS0_14default_configEiN2at4cuda3cub6detail10OpaqueTypeILi2EEEEEPiSC_PSA_SD_jNS1_19radix_merge_compareILb1ELb1EiNS0_19identity_decomposerEEEEEvT0_T1_T2_T3_T4_SL_jT5_PKSL_NS1_7vsmem_tE, .Lfunc_end8-_ZN7rocprim17ROCPRIM_304000_NS6detail35device_block_merge_mergepath_kernelINS1_37wrapped_merge_sort_block_merge_configINS0_14default_configEiN2at4cuda3cub6detail10OpaqueTypeILi2EEEEEPiSC_PSA_SD_jNS1_19radix_merge_compareILb1ELb1EiNS0_19identity_decomposerEEEEEvT0_T1_T2_T3_T4_SL_jT5_PKSL_NS1_7vsmem_tE
                                        ; -- End function
	.set _ZN7rocprim17ROCPRIM_304000_NS6detail35device_block_merge_mergepath_kernelINS1_37wrapped_merge_sort_block_merge_configINS0_14default_configEiN2at4cuda3cub6detail10OpaqueTypeILi2EEEEEPiSC_PSA_SD_jNS1_19radix_merge_compareILb1ELb1EiNS0_19identity_decomposerEEEEEvT0_T1_T2_T3_T4_SL_jT5_PKSL_NS1_7vsmem_tE.num_vgpr, 22
	.set _ZN7rocprim17ROCPRIM_304000_NS6detail35device_block_merge_mergepath_kernelINS1_37wrapped_merge_sort_block_merge_configINS0_14default_configEiN2at4cuda3cub6detail10OpaqueTypeILi2EEEEEPiSC_PSA_SD_jNS1_19radix_merge_compareILb1ELb1EiNS0_19identity_decomposerEEEEEvT0_T1_T2_T3_T4_SL_jT5_PKSL_NS1_7vsmem_tE.num_agpr, 0
	.set _ZN7rocprim17ROCPRIM_304000_NS6detail35device_block_merge_mergepath_kernelINS1_37wrapped_merge_sort_block_merge_configINS0_14default_configEiN2at4cuda3cub6detail10OpaqueTypeILi2EEEEEPiSC_PSA_SD_jNS1_19radix_merge_compareILb1ELb1EiNS0_19identity_decomposerEEEEEvT0_T1_T2_T3_T4_SL_jT5_PKSL_NS1_7vsmem_tE.numbered_sgpr, 32
	.set _ZN7rocprim17ROCPRIM_304000_NS6detail35device_block_merge_mergepath_kernelINS1_37wrapped_merge_sort_block_merge_configINS0_14default_configEiN2at4cuda3cub6detail10OpaqueTypeILi2EEEEEPiSC_PSA_SD_jNS1_19radix_merge_compareILb1ELb1EiNS0_19identity_decomposerEEEEEvT0_T1_T2_T3_T4_SL_jT5_PKSL_NS1_7vsmem_tE.num_named_barrier, 0
	.set _ZN7rocprim17ROCPRIM_304000_NS6detail35device_block_merge_mergepath_kernelINS1_37wrapped_merge_sort_block_merge_configINS0_14default_configEiN2at4cuda3cub6detail10OpaqueTypeILi2EEEEEPiSC_PSA_SD_jNS1_19radix_merge_compareILb1ELb1EiNS0_19identity_decomposerEEEEEvT0_T1_T2_T3_T4_SL_jT5_PKSL_NS1_7vsmem_tE.private_seg_size, 0
	.set _ZN7rocprim17ROCPRIM_304000_NS6detail35device_block_merge_mergepath_kernelINS1_37wrapped_merge_sort_block_merge_configINS0_14default_configEiN2at4cuda3cub6detail10OpaqueTypeILi2EEEEEPiSC_PSA_SD_jNS1_19radix_merge_compareILb1ELb1EiNS0_19identity_decomposerEEEEEvT0_T1_T2_T3_T4_SL_jT5_PKSL_NS1_7vsmem_tE.uses_vcc, 1
	.set _ZN7rocprim17ROCPRIM_304000_NS6detail35device_block_merge_mergepath_kernelINS1_37wrapped_merge_sort_block_merge_configINS0_14default_configEiN2at4cuda3cub6detail10OpaqueTypeILi2EEEEEPiSC_PSA_SD_jNS1_19radix_merge_compareILb1ELb1EiNS0_19identity_decomposerEEEEEvT0_T1_T2_T3_T4_SL_jT5_PKSL_NS1_7vsmem_tE.uses_flat_scratch, 0
	.set _ZN7rocprim17ROCPRIM_304000_NS6detail35device_block_merge_mergepath_kernelINS1_37wrapped_merge_sort_block_merge_configINS0_14default_configEiN2at4cuda3cub6detail10OpaqueTypeILi2EEEEEPiSC_PSA_SD_jNS1_19radix_merge_compareILb1ELb1EiNS0_19identity_decomposerEEEEEvT0_T1_T2_T3_T4_SL_jT5_PKSL_NS1_7vsmem_tE.has_dyn_sized_stack, 0
	.set _ZN7rocprim17ROCPRIM_304000_NS6detail35device_block_merge_mergepath_kernelINS1_37wrapped_merge_sort_block_merge_configINS0_14default_configEiN2at4cuda3cub6detail10OpaqueTypeILi2EEEEEPiSC_PSA_SD_jNS1_19radix_merge_compareILb1ELb1EiNS0_19identity_decomposerEEEEEvT0_T1_T2_T3_T4_SL_jT5_PKSL_NS1_7vsmem_tE.has_recursion, 0
	.set _ZN7rocprim17ROCPRIM_304000_NS6detail35device_block_merge_mergepath_kernelINS1_37wrapped_merge_sort_block_merge_configINS0_14default_configEiN2at4cuda3cub6detail10OpaqueTypeILi2EEEEEPiSC_PSA_SD_jNS1_19radix_merge_compareILb1ELb1EiNS0_19identity_decomposerEEEEEvT0_T1_T2_T3_T4_SL_jT5_PKSL_NS1_7vsmem_tE.has_indirect_call, 0
	.section	.AMDGPU.csdata,"",@progbits
; Kernel info:
; codeLenInByte = 3036
; TotalNumSgprs: 38
; NumVgprs: 22
; NumAgprs: 0
; TotalNumVgprs: 22
; ScratchSize: 0
; MemoryBound: 0
; FloatMode: 240
; IeeeMode: 1
; LDSByteSize: 4224 bytes/workgroup (compile time only)
; SGPRBlocks: 4
; VGPRBlocks: 2
; NumSGPRsForWavesPerEU: 38
; NumVGPRsForWavesPerEU: 22
; AccumOffset: 24
; Occupancy: 8
; WaveLimiterHint : 1
; COMPUTE_PGM_RSRC2:SCRATCH_EN: 0
; COMPUTE_PGM_RSRC2:USER_SGPR: 2
; COMPUTE_PGM_RSRC2:TRAP_HANDLER: 0
; COMPUTE_PGM_RSRC2:TGID_X_EN: 1
; COMPUTE_PGM_RSRC2:TGID_Y_EN: 1
; COMPUTE_PGM_RSRC2:TGID_Z_EN: 1
; COMPUTE_PGM_RSRC2:TIDIG_COMP_CNT: 0
; COMPUTE_PGM_RSRC3_GFX90A:ACCUM_OFFSET: 5
; COMPUTE_PGM_RSRC3_GFX90A:TG_SPLIT: 0
	.section	.text._ZN7rocprim17ROCPRIM_304000_NS6detail33device_block_merge_oddeven_kernelINS1_37wrapped_merge_sort_block_merge_configINS0_14default_configEiN2at4cuda3cub6detail10OpaqueTypeILi2EEEEEPiSC_PSA_SD_jNS1_19radix_merge_compareILb1ELb1EiNS0_19identity_decomposerEEEEEvT0_T1_T2_T3_T4_SL_T5_,"axG",@progbits,_ZN7rocprim17ROCPRIM_304000_NS6detail33device_block_merge_oddeven_kernelINS1_37wrapped_merge_sort_block_merge_configINS0_14default_configEiN2at4cuda3cub6detail10OpaqueTypeILi2EEEEEPiSC_PSA_SD_jNS1_19radix_merge_compareILb1ELb1EiNS0_19identity_decomposerEEEEEvT0_T1_T2_T3_T4_SL_T5_,comdat
	.protected	_ZN7rocprim17ROCPRIM_304000_NS6detail33device_block_merge_oddeven_kernelINS1_37wrapped_merge_sort_block_merge_configINS0_14default_configEiN2at4cuda3cub6detail10OpaqueTypeILi2EEEEEPiSC_PSA_SD_jNS1_19radix_merge_compareILb1ELb1EiNS0_19identity_decomposerEEEEEvT0_T1_T2_T3_T4_SL_T5_ ; -- Begin function _ZN7rocprim17ROCPRIM_304000_NS6detail33device_block_merge_oddeven_kernelINS1_37wrapped_merge_sort_block_merge_configINS0_14default_configEiN2at4cuda3cub6detail10OpaqueTypeILi2EEEEEPiSC_PSA_SD_jNS1_19radix_merge_compareILb1ELb1EiNS0_19identity_decomposerEEEEEvT0_T1_T2_T3_T4_SL_T5_
	.globl	_ZN7rocprim17ROCPRIM_304000_NS6detail33device_block_merge_oddeven_kernelINS1_37wrapped_merge_sort_block_merge_configINS0_14default_configEiN2at4cuda3cub6detail10OpaqueTypeILi2EEEEEPiSC_PSA_SD_jNS1_19radix_merge_compareILb1ELb1EiNS0_19identity_decomposerEEEEEvT0_T1_T2_T3_T4_SL_T5_
	.p2align	8
	.type	_ZN7rocprim17ROCPRIM_304000_NS6detail33device_block_merge_oddeven_kernelINS1_37wrapped_merge_sort_block_merge_configINS0_14default_configEiN2at4cuda3cub6detail10OpaqueTypeILi2EEEEEPiSC_PSA_SD_jNS1_19radix_merge_compareILb1ELb1EiNS0_19identity_decomposerEEEEEvT0_T1_T2_T3_T4_SL_T5_,@function
_ZN7rocprim17ROCPRIM_304000_NS6detail33device_block_merge_oddeven_kernelINS1_37wrapped_merge_sort_block_merge_configINS0_14default_configEiN2at4cuda3cub6detail10OpaqueTypeILi2EEEEEPiSC_PSA_SD_jNS1_19radix_merge_compareILb1ELb1EiNS0_19identity_decomposerEEEEEvT0_T1_T2_T3_T4_SL_T5_: ; @_ZN7rocprim17ROCPRIM_304000_NS6detail33device_block_merge_oddeven_kernelINS1_37wrapped_merge_sort_block_merge_configINS0_14default_configEiN2at4cuda3cub6detail10OpaqueTypeILi2EEEEEPiSC_PSA_SD_jNS1_19radix_merge_compareILb1ELb1EiNS0_19identity_decomposerEEEEEvT0_T1_T2_T3_T4_SL_T5_
; %bb.0:
	s_load_dwordx4 s[16:19], s[0:1], 0x20
	s_waitcnt lgkmcnt(0)
	s_lshr_b32 s3, s16, 8
	s_cmp_eq_u32 s2, s3
	s_cselect_b64 s[6:7], -1, 0
	s_cmp_lg_u32 s2, s3
	s_cselect_b64 s[8:9], -1, 0
	s_lshl_b32 s20, s2, 8
	s_sub_i32 s3, s16, s20
	v_cmp_gt_u32_e64 s[4:5], s3, v0
	s_or_b64 s[8:9], s[8:9], s[4:5]
	s_and_saveexec_b64 s[10:11], s[8:9]
	s_cbranch_execz .LBB9_24
; %bb.1:
	s_load_dwordx8 s[8:15], s[0:1], 0x0
	s_mov_b32 s21, 0
	s_lshl_b64 s[0:1], s[20:21], 2
	v_lshlrev_b32_e32 v4, 1, v0
	v_lshlrev_b32_e32 v1, 2, v0
	s_waitcnt lgkmcnt(0)
	s_add_u32 s0, s8, s0
	s_addc_u32 s1, s9, s1
	s_lshl_b64 s[22:23], s[20:21], 1
	s_add_u32 s12, s12, s22
	s_addc_u32 s13, s13, s23
	global_load_ushort v2, v4, s[12:13]
	global_load_dword v3, v1, s[0:1]
	s_lshr_b32 s0, s17, 8
	s_sub_i32 s1, 0, s0
	s_and_b32 s1, s2, s1
	s_and_b32 s0, s1, s0
	s_lshl_b32 s19, s1, 8
	s_sub_i32 s12, 0, s17
	s_cmp_eq_u32 s0, 0
	s_cselect_b64 s[0:1], -1, 0
	s_and_b64 s[2:3], s[0:1], exec
	s_cselect_b32 s12, s17, s12
	s_add_i32 s12, s12, s19
	s_mov_b64 s[2:3], -1
	s_cmp_gt_u32 s16, s12
	v_add_u32_e32 v0, s20, v0
	s_cbranch_scc1 .LBB9_9
; %bb.2:
	s_and_b64 vcc, exec, s[6:7]
	s_cbranch_vccz .LBB9_6
; %bb.3:
	v_cmp_gt_u32_e32 vcc, s16, v0
	s_and_saveexec_b64 s[2:3], vcc
	s_cbranch_execz .LBB9_5
; %bb.4:
	v_mov_b32_e32 v1, 0
	v_lshl_add_u64 v[6:7], v[0:1], 2, s[10:11]
	v_lshl_add_u64 v[4:5], v[0:1], 1, s[14:15]
	s_waitcnt vmcnt(0)
	global_store_dword v[6:7], v3, off
	global_store_short v[4:5], v2, off
.LBB9_5:
	s_or_b64 exec, exec, s[2:3]
	s_mov_b64 s[2:3], 0
.LBB9_6:
	s_andn2_b64 vcc, exec, s[2:3]
	s_cbranch_vccnz .LBB9_8
; %bb.7:
	v_mov_b32_e32 v1, 0
	v_lshl_add_u64 v[4:5], v[0:1], 2, s[10:11]
	v_lshl_add_u64 v[6:7], v[0:1], 1, s[14:15]
	s_waitcnt vmcnt(0)
	global_store_dword v[4:5], v3, off
	global_store_short v[6:7], v2, off
.LBB9_8:
	s_mov_b64 s[2:3], 0
.LBB9_9:
	s_andn2_b64 vcc, exec, s[2:3]
	s_cbranch_vccnz .LBB9_24
; %bb.10:
	s_min_u32 s13, s12, s16
	s_add_i32 s2, s13, s17
	s_min_u32 s16, s2, s16
	s_min_u32 s2, s19, s13
	s_add_i32 s19, s19, s13
	v_subrev_u32_e32 v0, s19, v0
	v_add_u32_e32 v4, s2, v0
	s_waitcnt vmcnt(0)
	v_and_b32_e32 v5, s18, v3
	s_mov_b64 s[2:3], -1
	s_and_b64 vcc, exec, s[6:7]
	s_cbranch_vccz .LBB9_18
; %bb.11:
	s_and_saveexec_b64 s[2:3], s[4:5]
	s_cbranch_execz .LBB9_17
; %bb.12:
	s_cmp_ge_u32 s12, s16
	v_mov_b32_e32 v6, s13
	s_cbranch_scc1 .LBB9_16
; %bb.13:
	s_mov_b64 s[4:5], 0
	v_mov_b32_e32 v7, s16
	v_mov_b32_e32 v6, s13
	;; [unrolled: 1-line block ×3, first 2 shown]
.LBB9_14:                               ; =>This Inner Loop Header: Depth=1
	v_add_u32_e32 v0, v6, v7
	v_lshrrev_b32_e32 v0, 1, v0
	v_lshl_add_u64 v[8:9], v[0:1], 2, s[8:9]
	global_load_dword v8, v[8:9], off
	v_add_u32_e32 v9, 1, v0
	s_waitcnt vmcnt(0)
	v_and_b32_e32 v8, s18, v8
	v_cmp_gt_i32_e32 vcc, v8, v5
	s_nop 1
	v_cndmask_b32_e64 v10, 0, 1, vcc
	v_cmp_le_i32_e32 vcc, v5, v8
	s_nop 1
	v_cndmask_b32_e64 v8, 0, 1, vcc
	v_cndmask_b32_e64 v8, v8, v10, s[0:1]
	v_and_b32_e32 v8, 1, v8
	v_cmp_eq_u32_e32 vcc, 1, v8
	s_nop 1
	v_cndmask_b32_e32 v7, v0, v7, vcc
	v_cndmask_b32_e32 v6, v6, v9, vcc
	v_cmp_ge_u32_e32 vcc, v6, v7
	s_or_b64 s[4:5], vcc, s[4:5]
	s_andn2_b64 exec, exec, s[4:5]
	s_cbranch_execnz .LBB9_14
; %bb.15:
	s_or_b64 exec, exec, s[4:5]
.LBB9_16:
	v_add_u32_e32 v0, v6, v4
	v_mov_b32_e32 v1, 0
	v_lshl_add_u64 v[6:7], v[0:1], 2, s[10:11]
	v_lshl_add_u64 v[0:1], v[0:1], 1, s[14:15]
	global_store_dword v[6:7], v3, off
	global_store_short v[0:1], v2, off
.LBB9_17:
	s_or_b64 exec, exec, s[2:3]
	s_mov_b64 s[2:3], 0
.LBB9_18:
	s_andn2_b64 vcc, exec, s[2:3]
	s_cbranch_vccnz .LBB9_24
; %bb.19:
	s_cmp_ge_u32 s12, s16
	v_mov_b32_e32 v6, s13
	s_cbranch_scc1 .LBB9_23
; %bb.20:
	s_mov_b64 s[2:3], 0
	v_mov_b32_e32 v7, s16
	v_mov_b32_e32 v6, s13
	;; [unrolled: 1-line block ×3, first 2 shown]
.LBB9_21:                               ; =>This Inner Loop Header: Depth=1
	v_add_u32_e32 v0, v6, v7
	v_lshrrev_b32_e32 v0, 1, v0
	v_lshl_add_u64 v[8:9], v[0:1], 2, s[8:9]
	global_load_dword v8, v[8:9], off
	v_add_u32_e32 v9, 1, v0
	s_waitcnt vmcnt(0)
	v_and_b32_e32 v8, s18, v8
	v_cmp_gt_i32_e32 vcc, v8, v5
	s_nop 1
	v_cndmask_b32_e64 v10, 0, 1, vcc
	v_cmp_le_i32_e32 vcc, v5, v8
	s_nop 1
	v_cndmask_b32_e64 v8, 0, 1, vcc
	v_cndmask_b32_e64 v8, v8, v10, s[0:1]
	v_and_b32_e32 v8, 1, v8
	v_cmp_eq_u32_e32 vcc, 1, v8
	s_nop 1
	v_cndmask_b32_e32 v7, v0, v7, vcc
	v_cndmask_b32_e32 v6, v6, v9, vcc
	v_cmp_ge_u32_e32 vcc, v6, v7
	s_or_b64 s[2:3], vcc, s[2:3]
	s_andn2_b64 exec, exec, s[2:3]
	s_cbranch_execnz .LBB9_21
; %bb.22:
	s_or_b64 exec, exec, s[2:3]
.LBB9_23:
	v_add_u32_e32 v0, v6, v4
	v_mov_b32_e32 v1, 0
	v_lshl_add_u64 v[4:5], v[0:1], 2, s[10:11]
	v_lshl_add_u64 v[0:1], v[0:1], 1, s[14:15]
	global_store_dword v[4:5], v3, off
	global_store_short v[0:1], v2, off
.LBB9_24:
	s_endpgm
	.section	.rodata,"a",@progbits
	.p2align	6, 0x0
	.amdhsa_kernel _ZN7rocprim17ROCPRIM_304000_NS6detail33device_block_merge_oddeven_kernelINS1_37wrapped_merge_sort_block_merge_configINS0_14default_configEiN2at4cuda3cub6detail10OpaqueTypeILi2EEEEEPiSC_PSA_SD_jNS1_19radix_merge_compareILb1ELb1EiNS0_19identity_decomposerEEEEEvT0_T1_T2_T3_T4_SL_T5_
		.amdhsa_group_segment_fixed_size 0
		.amdhsa_private_segment_fixed_size 0
		.amdhsa_kernarg_size 44
		.amdhsa_user_sgpr_count 2
		.amdhsa_user_sgpr_dispatch_ptr 0
		.amdhsa_user_sgpr_queue_ptr 0
		.amdhsa_user_sgpr_kernarg_segment_ptr 1
		.amdhsa_user_sgpr_dispatch_id 0
		.amdhsa_user_sgpr_kernarg_preload_length 0
		.amdhsa_user_sgpr_kernarg_preload_offset 0
		.amdhsa_user_sgpr_private_segment_size 0
		.amdhsa_uses_dynamic_stack 0
		.amdhsa_enable_private_segment 0
		.amdhsa_system_sgpr_workgroup_id_x 1
		.amdhsa_system_sgpr_workgroup_id_y 0
		.amdhsa_system_sgpr_workgroup_id_z 0
		.amdhsa_system_sgpr_workgroup_info 0
		.amdhsa_system_vgpr_workitem_id 0
		.amdhsa_next_free_vgpr 11
		.amdhsa_next_free_sgpr 24
		.amdhsa_accum_offset 12
		.amdhsa_reserve_vcc 1
		.amdhsa_float_round_mode_32 0
		.amdhsa_float_round_mode_16_64 0
		.amdhsa_float_denorm_mode_32 3
		.amdhsa_float_denorm_mode_16_64 3
		.amdhsa_dx10_clamp 1
		.amdhsa_ieee_mode 1
		.amdhsa_fp16_overflow 0
		.amdhsa_tg_split 0
		.amdhsa_exception_fp_ieee_invalid_op 0
		.amdhsa_exception_fp_denorm_src 0
		.amdhsa_exception_fp_ieee_div_zero 0
		.amdhsa_exception_fp_ieee_overflow 0
		.amdhsa_exception_fp_ieee_underflow 0
		.amdhsa_exception_fp_ieee_inexact 0
		.amdhsa_exception_int_div_zero 0
	.end_amdhsa_kernel
	.section	.text._ZN7rocprim17ROCPRIM_304000_NS6detail33device_block_merge_oddeven_kernelINS1_37wrapped_merge_sort_block_merge_configINS0_14default_configEiN2at4cuda3cub6detail10OpaqueTypeILi2EEEEEPiSC_PSA_SD_jNS1_19radix_merge_compareILb1ELb1EiNS0_19identity_decomposerEEEEEvT0_T1_T2_T3_T4_SL_T5_,"axG",@progbits,_ZN7rocprim17ROCPRIM_304000_NS6detail33device_block_merge_oddeven_kernelINS1_37wrapped_merge_sort_block_merge_configINS0_14default_configEiN2at4cuda3cub6detail10OpaqueTypeILi2EEEEEPiSC_PSA_SD_jNS1_19radix_merge_compareILb1ELb1EiNS0_19identity_decomposerEEEEEvT0_T1_T2_T3_T4_SL_T5_,comdat
.Lfunc_end9:
	.size	_ZN7rocprim17ROCPRIM_304000_NS6detail33device_block_merge_oddeven_kernelINS1_37wrapped_merge_sort_block_merge_configINS0_14default_configEiN2at4cuda3cub6detail10OpaqueTypeILi2EEEEEPiSC_PSA_SD_jNS1_19radix_merge_compareILb1ELb1EiNS0_19identity_decomposerEEEEEvT0_T1_T2_T3_T4_SL_T5_, .Lfunc_end9-_ZN7rocprim17ROCPRIM_304000_NS6detail33device_block_merge_oddeven_kernelINS1_37wrapped_merge_sort_block_merge_configINS0_14default_configEiN2at4cuda3cub6detail10OpaqueTypeILi2EEEEEPiSC_PSA_SD_jNS1_19radix_merge_compareILb1ELb1EiNS0_19identity_decomposerEEEEEvT0_T1_T2_T3_T4_SL_T5_
                                        ; -- End function
	.set _ZN7rocprim17ROCPRIM_304000_NS6detail33device_block_merge_oddeven_kernelINS1_37wrapped_merge_sort_block_merge_configINS0_14default_configEiN2at4cuda3cub6detail10OpaqueTypeILi2EEEEEPiSC_PSA_SD_jNS1_19radix_merge_compareILb1ELb1EiNS0_19identity_decomposerEEEEEvT0_T1_T2_T3_T4_SL_T5_.num_vgpr, 11
	.set _ZN7rocprim17ROCPRIM_304000_NS6detail33device_block_merge_oddeven_kernelINS1_37wrapped_merge_sort_block_merge_configINS0_14default_configEiN2at4cuda3cub6detail10OpaqueTypeILi2EEEEEPiSC_PSA_SD_jNS1_19radix_merge_compareILb1ELb1EiNS0_19identity_decomposerEEEEEvT0_T1_T2_T3_T4_SL_T5_.num_agpr, 0
	.set _ZN7rocprim17ROCPRIM_304000_NS6detail33device_block_merge_oddeven_kernelINS1_37wrapped_merge_sort_block_merge_configINS0_14default_configEiN2at4cuda3cub6detail10OpaqueTypeILi2EEEEEPiSC_PSA_SD_jNS1_19radix_merge_compareILb1ELb1EiNS0_19identity_decomposerEEEEEvT0_T1_T2_T3_T4_SL_T5_.numbered_sgpr, 24
	.set _ZN7rocprim17ROCPRIM_304000_NS6detail33device_block_merge_oddeven_kernelINS1_37wrapped_merge_sort_block_merge_configINS0_14default_configEiN2at4cuda3cub6detail10OpaqueTypeILi2EEEEEPiSC_PSA_SD_jNS1_19radix_merge_compareILb1ELb1EiNS0_19identity_decomposerEEEEEvT0_T1_T2_T3_T4_SL_T5_.num_named_barrier, 0
	.set _ZN7rocprim17ROCPRIM_304000_NS6detail33device_block_merge_oddeven_kernelINS1_37wrapped_merge_sort_block_merge_configINS0_14default_configEiN2at4cuda3cub6detail10OpaqueTypeILi2EEEEEPiSC_PSA_SD_jNS1_19radix_merge_compareILb1ELb1EiNS0_19identity_decomposerEEEEEvT0_T1_T2_T3_T4_SL_T5_.private_seg_size, 0
	.set _ZN7rocprim17ROCPRIM_304000_NS6detail33device_block_merge_oddeven_kernelINS1_37wrapped_merge_sort_block_merge_configINS0_14default_configEiN2at4cuda3cub6detail10OpaqueTypeILi2EEEEEPiSC_PSA_SD_jNS1_19radix_merge_compareILb1ELb1EiNS0_19identity_decomposerEEEEEvT0_T1_T2_T3_T4_SL_T5_.uses_vcc, 1
	.set _ZN7rocprim17ROCPRIM_304000_NS6detail33device_block_merge_oddeven_kernelINS1_37wrapped_merge_sort_block_merge_configINS0_14default_configEiN2at4cuda3cub6detail10OpaqueTypeILi2EEEEEPiSC_PSA_SD_jNS1_19radix_merge_compareILb1ELb1EiNS0_19identity_decomposerEEEEEvT0_T1_T2_T3_T4_SL_T5_.uses_flat_scratch, 0
	.set _ZN7rocprim17ROCPRIM_304000_NS6detail33device_block_merge_oddeven_kernelINS1_37wrapped_merge_sort_block_merge_configINS0_14default_configEiN2at4cuda3cub6detail10OpaqueTypeILi2EEEEEPiSC_PSA_SD_jNS1_19radix_merge_compareILb1ELb1EiNS0_19identity_decomposerEEEEEvT0_T1_T2_T3_T4_SL_T5_.has_dyn_sized_stack, 0
	.set _ZN7rocprim17ROCPRIM_304000_NS6detail33device_block_merge_oddeven_kernelINS1_37wrapped_merge_sort_block_merge_configINS0_14default_configEiN2at4cuda3cub6detail10OpaqueTypeILi2EEEEEPiSC_PSA_SD_jNS1_19radix_merge_compareILb1ELb1EiNS0_19identity_decomposerEEEEEvT0_T1_T2_T3_T4_SL_T5_.has_recursion, 0
	.set _ZN7rocprim17ROCPRIM_304000_NS6detail33device_block_merge_oddeven_kernelINS1_37wrapped_merge_sort_block_merge_configINS0_14default_configEiN2at4cuda3cub6detail10OpaqueTypeILi2EEEEEPiSC_PSA_SD_jNS1_19radix_merge_compareILb1ELb1EiNS0_19identity_decomposerEEEEEvT0_T1_T2_T3_T4_SL_T5_.has_indirect_call, 0
	.section	.AMDGPU.csdata,"",@progbits
; Kernel info:
; codeLenInByte = 756
; TotalNumSgprs: 30
; NumVgprs: 11
; NumAgprs: 0
; TotalNumVgprs: 11
; ScratchSize: 0
; MemoryBound: 0
; FloatMode: 240
; IeeeMode: 1
; LDSByteSize: 0 bytes/workgroup (compile time only)
; SGPRBlocks: 3
; VGPRBlocks: 1
; NumSGPRsForWavesPerEU: 30
; NumVGPRsForWavesPerEU: 11
; AccumOffset: 12
; Occupancy: 8
; WaveLimiterHint : 0
; COMPUTE_PGM_RSRC2:SCRATCH_EN: 0
; COMPUTE_PGM_RSRC2:USER_SGPR: 2
; COMPUTE_PGM_RSRC2:TRAP_HANDLER: 0
; COMPUTE_PGM_RSRC2:TGID_X_EN: 1
; COMPUTE_PGM_RSRC2:TGID_Y_EN: 0
; COMPUTE_PGM_RSRC2:TGID_Z_EN: 0
; COMPUTE_PGM_RSRC2:TIDIG_COMP_CNT: 0
; COMPUTE_PGM_RSRC3_GFX90A:ACCUM_OFFSET: 2
; COMPUTE_PGM_RSRC3_GFX90A:TG_SPLIT: 0
	.section	.text._ZN7rocprim17ROCPRIM_304000_NS6detail26onesweep_histograms_kernelINS1_34wrapped_radix_sort_onesweep_configINS0_14default_configEiN2at4cuda3cub6detail10OpaqueTypeILi2EEEEELb1EPKimNS0_19identity_decomposerEEEvT1_PT2_SG_SG_T3_jj,"axG",@progbits,_ZN7rocprim17ROCPRIM_304000_NS6detail26onesweep_histograms_kernelINS1_34wrapped_radix_sort_onesweep_configINS0_14default_configEiN2at4cuda3cub6detail10OpaqueTypeILi2EEEEELb1EPKimNS0_19identity_decomposerEEEvT1_PT2_SG_SG_T3_jj,comdat
	.protected	_ZN7rocprim17ROCPRIM_304000_NS6detail26onesweep_histograms_kernelINS1_34wrapped_radix_sort_onesweep_configINS0_14default_configEiN2at4cuda3cub6detail10OpaqueTypeILi2EEEEELb1EPKimNS0_19identity_decomposerEEEvT1_PT2_SG_SG_T3_jj ; -- Begin function _ZN7rocprim17ROCPRIM_304000_NS6detail26onesweep_histograms_kernelINS1_34wrapped_radix_sort_onesweep_configINS0_14default_configEiN2at4cuda3cub6detail10OpaqueTypeILi2EEEEELb1EPKimNS0_19identity_decomposerEEEvT1_PT2_SG_SG_T3_jj
	.globl	_ZN7rocprim17ROCPRIM_304000_NS6detail26onesweep_histograms_kernelINS1_34wrapped_radix_sort_onesweep_configINS0_14default_configEiN2at4cuda3cub6detail10OpaqueTypeILi2EEEEELb1EPKimNS0_19identity_decomposerEEEvT1_PT2_SG_SG_T3_jj
	.p2align	8
	.type	_ZN7rocprim17ROCPRIM_304000_NS6detail26onesweep_histograms_kernelINS1_34wrapped_radix_sort_onesweep_configINS0_14default_configEiN2at4cuda3cub6detail10OpaqueTypeILi2EEEEELb1EPKimNS0_19identity_decomposerEEEvT1_PT2_SG_SG_T3_jj,@function
_ZN7rocprim17ROCPRIM_304000_NS6detail26onesweep_histograms_kernelINS1_34wrapped_radix_sort_onesweep_configINS0_14default_configEiN2at4cuda3cub6detail10OpaqueTypeILi2EEEEELb1EPKimNS0_19identity_decomposerEEEvT1_PT2_SG_SG_T3_jj: ; @_ZN7rocprim17ROCPRIM_304000_NS6detail26onesweep_histograms_kernelINS1_34wrapped_radix_sort_onesweep_configINS0_14default_configEiN2at4cuda3cub6detail10OpaqueTypeILi2EEEEELb1EPKimNS0_19identity_decomposerEEEvT1_PT2_SG_SG_T3_jj
; %bb.0:
	s_load_dwordx8 s[36:43], s[0:1], 0x0
	s_load_dwordx2 s[34:35], s[0:1], 0x24
	s_mov_b32 s3, 0
	v_mov_b64_e32 v[2:3], s[2:3]
	s_lshl_b64 s[0:1], s[2:3], 14
	s_waitcnt lgkmcnt(0)
	v_cmp_le_u64_e32 vcc, s[42:43], v[2:3]
	s_add_u32 s36, s36, s0
	s_addc_u32 s37, s37, s1
	s_mov_b64 s[0:1], -1
	v_lshlrev_b32_e32 v2, 2, v0
	s_cbranch_vccz .LBB10_106
; %bb.1:
	s_lshl_b32 s0, s42, 12
	s_sub_i32 s33, s40, s0
	v_lshlrev_b32_e32 v4, 2, v0
	v_mov_b32_e32 v5, 0
	v_lshl_add_u64 v[6:7], s[36:37], 0, v[4:5]
	v_cmp_gt_u32_e64 s[30:31], s33, v0
                                        ; implicit-def: $vgpr20
	s_and_saveexec_b64 s[0:1], s[30:31]
	s_cbranch_execz .LBB10_3
; %bb.2:
	global_load_dword v1, v[6:7], off
	s_waitcnt vmcnt(0)
	v_xor_b32_e32 v20, 0x7fffffff, v1
.LBB10_3:
	s_or_b64 exec, exec, s[0:1]
	v_or_b32_e32 v1, 0x100, v0
	v_cmp_gt_u32_e64 s[28:29], s33, v1
                                        ; implicit-def: $vgpr19
	s_and_saveexec_b64 s[0:1], s[28:29]
	s_cbranch_execz .LBB10_5
; %bb.4:
	global_load_dword v1, v[6:7], off offset:1024
	s_waitcnt vmcnt(0)
	v_xor_b32_e32 v19, 0x7fffffff, v1
.LBB10_5:
	s_or_b64 exec, exec, s[0:1]
	v_or_b32_e32 v1, 0x200, v0
	v_cmp_gt_u32_e64 s[26:27], s33, v1
                                        ; implicit-def: $vgpr18
	s_and_saveexec_b64 s[0:1], s[26:27]
	s_cbranch_execz .LBB10_7
; %bb.6:
	global_load_dword v1, v[6:7], off offset:2048
	s_waitcnt vmcnt(0)
	v_xor_b32_e32 v18, 0x7fffffff, v1
.LBB10_7:
	s_or_b64 exec, exec, s[0:1]
	v_or_b32_e32 v1, 0x300, v0
	v_cmp_gt_u32_e64 s[24:25], s33, v1
                                        ; implicit-def: $vgpr17
	s_and_saveexec_b64 s[0:1], s[24:25]
	s_cbranch_execz .LBB10_9
; %bb.8:
	global_load_dword v1, v[6:7], off offset:3072
	s_waitcnt vmcnt(0)
	v_xor_b32_e32 v17, 0x7fffffff, v1
.LBB10_9:
	s_or_b64 exec, exec, s[0:1]
	v_or_b32_e32 v1, 0x400, v0
	v_cmp_gt_u32_e64 s[22:23], s33, v1
                                        ; implicit-def: $vgpr16
	s_and_saveexec_b64 s[0:1], s[22:23]
	s_cbranch_execz .LBB10_11
; %bb.10:
	v_add_co_u32_e32 v8, vcc, 0x1000, v6
	s_nop 1
	v_addc_co_u32_e32 v9, vcc, 0, v7, vcc
	global_load_dword v1, v[8:9], off
	s_waitcnt vmcnt(0)
	v_xor_b32_e32 v16, 0x7fffffff, v1
.LBB10_11:
	s_or_b64 exec, exec, s[0:1]
	v_or_b32_e32 v1, 0x500, v0
	v_cmp_gt_u32_e64 s[20:21], s33, v1
                                        ; implicit-def: $vgpr15
	s_and_saveexec_b64 s[0:1], s[20:21]
	s_cbranch_execz .LBB10_13
; %bb.12:
	v_add_co_u32_e32 v8, vcc, 0x1000, v6
	s_nop 1
	v_addc_co_u32_e32 v9, vcc, 0, v7, vcc
	global_load_dword v1, v[8:9], off offset:1024
	s_waitcnt vmcnt(0)
	v_xor_b32_e32 v15, 0x7fffffff, v1
.LBB10_13:
	s_or_b64 exec, exec, s[0:1]
	v_or_b32_e32 v1, 0x600, v0
	v_cmp_gt_u32_e64 s[18:19], s33, v1
                                        ; implicit-def: $vgpr14
	s_and_saveexec_b64 s[0:1], s[18:19]
	s_cbranch_execz .LBB10_15
; %bb.14:
	v_add_co_u32_e32 v8, vcc, 0x1000, v6
	s_nop 1
	v_addc_co_u32_e32 v9, vcc, 0, v7, vcc
	global_load_dword v1, v[8:9], off offset:2048
	s_waitcnt vmcnt(0)
	v_xor_b32_e32 v14, 0x7fffffff, v1
.LBB10_15:
	s_or_b64 exec, exec, s[0:1]
	v_or_b32_e32 v1, 0x700, v0
	v_cmp_gt_u32_e64 s[16:17], s33, v1
                                        ; implicit-def: $vgpr13
	s_and_saveexec_b64 s[0:1], s[16:17]
	s_cbranch_execz .LBB10_17
; %bb.16:
	v_add_co_u32_e32 v8, vcc, 0x1000, v6
	s_nop 1
	v_addc_co_u32_e32 v9, vcc, 0, v7, vcc
	global_load_dword v1, v[8:9], off offset:3072
	s_waitcnt vmcnt(0)
	v_xor_b32_e32 v13, 0x7fffffff, v1
.LBB10_17:
	s_or_b64 exec, exec, s[0:1]
	v_or_b32_e32 v1, 0x800, v0
	v_cmp_gt_u32_e64 s[14:15], s33, v1
                                        ; implicit-def: $vgpr12
	s_and_saveexec_b64 s[0:1], s[14:15]
	s_cbranch_execz .LBB10_19
; %bb.18:
	v_add_co_u32_e32 v8, vcc, 0x2000, v6
	s_nop 1
	v_addc_co_u32_e32 v9, vcc, 0, v7, vcc
	global_load_dword v1, v[8:9], off
	s_waitcnt vmcnt(0)
	v_xor_b32_e32 v12, 0x7fffffff, v1
.LBB10_19:
	s_or_b64 exec, exec, s[0:1]
	v_or_b32_e32 v1, 0x900, v0
	v_cmp_gt_u32_e64 s[12:13], s33, v1
                                        ; implicit-def: $vgpr11
	s_and_saveexec_b64 s[0:1], s[12:13]
	s_cbranch_execz .LBB10_21
; %bb.20:
	v_add_co_u32_e32 v8, vcc, 0x2000, v6
	s_nop 1
	v_addc_co_u32_e32 v9, vcc, 0, v7, vcc
	global_load_dword v1, v[8:9], off offset:1024
	s_waitcnt vmcnt(0)
	v_xor_b32_e32 v11, 0x7fffffff, v1
.LBB10_21:
	s_or_b64 exec, exec, s[0:1]
	v_or_b32_e32 v1, 0xa00, v0
	v_cmp_gt_u32_e64 s[10:11], s33, v1
                                        ; implicit-def: $vgpr10
	s_and_saveexec_b64 s[0:1], s[10:11]
	s_cbranch_execz .LBB10_23
; %bb.22:
	v_add_co_u32_e32 v8, vcc, 0x2000, v6
	s_nop 1
	v_addc_co_u32_e32 v9, vcc, 0, v7, vcc
	global_load_dword v1, v[8:9], off offset:2048
	s_waitcnt vmcnt(0)
	v_xor_b32_e32 v10, 0x7fffffff, v1
.LBB10_23:
	s_or_b64 exec, exec, s[0:1]
	v_or_b32_e32 v1, 0xb00, v0
	v_cmp_gt_u32_e64 s[8:9], s33, v1
                                        ; implicit-def: $vgpr9
	s_and_saveexec_b64 s[0:1], s[8:9]
	s_cbranch_execz .LBB10_25
; %bb.24:
	v_add_co_u32_e32 v8, vcc, 0x2000, v6
	s_nop 1
	v_addc_co_u32_e32 v9, vcc, 0, v7, vcc
	global_load_dword v1, v[8:9], off offset:3072
	s_waitcnt vmcnt(0)
	v_xor_b32_e32 v9, 0x7fffffff, v1
.LBB10_25:
	s_or_b64 exec, exec, s[0:1]
	v_or_b32_e32 v1, 0xc00, v0
	v_cmp_gt_u32_e64 s[6:7], s33, v1
                                        ; implicit-def: $vgpr8
	s_and_saveexec_b64 s[0:1], s[6:7]
	s_cbranch_execz .LBB10_27
; %bb.26:
	v_add_co_u32_e32 v22, vcc, 0x3000, v6
	s_nop 1
	v_addc_co_u32_e32 v23, vcc, 0, v7, vcc
	global_load_dword v1, v[22:23], off
	s_waitcnt vmcnt(0)
	v_xor_b32_e32 v8, 0x7fffffff, v1
.LBB10_27:
	s_or_b64 exec, exec, s[0:1]
	v_or_b32_e32 v1, 0xd00, v0
	v_cmp_gt_u32_e64 s[4:5], s33, v1
                                        ; implicit-def: $vgpr5
	s_and_saveexec_b64 s[0:1], s[4:5]
	s_cbranch_execz .LBB10_29
; %bb.28:
	v_add_co_u32_e32 v22, vcc, 0x3000, v6
	s_nop 1
	v_addc_co_u32_e32 v23, vcc, 0, v7, vcc
	global_load_dword v1, v[22:23], off offset:1024
	s_waitcnt vmcnt(0)
	v_xor_b32_e32 v5, 0x7fffffff, v1
.LBB10_29:
	s_or_b64 exec, exec, s[0:1]
	v_or_b32_e32 v1, 0xe00, v0
	v_cmp_gt_u32_e64 s[2:3], s33, v1
                                        ; implicit-def: $vgpr3
	s_and_saveexec_b64 s[0:1], s[2:3]
	s_cbranch_execz .LBB10_31
; %bb.30:
	v_add_co_u32_e32 v22, vcc, 0x3000, v6
	s_nop 1
	v_addc_co_u32_e32 v23, vcc, 0, v7, vcc
	global_load_dword v1, v[22:23], off offset:2048
	s_waitcnt vmcnt(0)
	v_xor_b32_e32 v3, 0x7fffffff, v1
.LBB10_31:
	s_or_b64 exec, exec, s[0:1]
	v_or_b32_e32 v1, 0xf00, v0
	v_cmp_gt_u32_e64 s[0:1], s33, v1
                                        ; implicit-def: $vgpr1
	s_and_saveexec_b64 s[40:41], s[0:1]
	s_cbranch_execz .LBB10_33
; %bb.32:
	v_add_co_u32_e32 v6, vcc, 0x3000, v6
	s_nop 1
	v_addc_co_u32_e32 v7, vcc, 0, v7, vcc
	global_load_dword v1, v[6:7], off offset:3072
	s_waitcnt vmcnt(0)
	v_xor_b32_e32 v1, 0x7fffffff, v1
.LBB10_33:
	s_or_b64 exec, exec, s[40:41]
	v_or_b32_e32 v6, 0xffffff00, v0
	s_mov_b64 s[40:41], 0
	v_mov_b32_e32 v7, 0
	s_movk_i32 s33, 0xeff
.LBB10_34:                              ; =>This Inner Loop Header: Depth=1
	v_add_u32_e32 v6, 0x100, v6
	v_cmp_lt_u32_e32 vcc, s33, v6
	ds_write_b32 v4, v7
	s_or_b64 s[40:41], vcc, s[40:41]
	v_add_u32_e32 v4, 0x400, v4
	s_andn2_b64 exec, exec, s[40:41]
	s_cbranch_execnz .LBB10_34
; %bb.35:
	s_or_b64 exec, exec, s[40:41]
	s_cmp_gt_u32 s35, s34
	s_cselect_b64 s[40:41], -1, 0
	s_cmp_le_u32 s35, s34
	s_waitcnt lgkmcnt(0)
	s_barrier
	s_cbranch_scc1 .LBB10_100
; %bb.36:
	v_and_b32_e32 v4, 3, v0
	v_lshlrev_b32_e32 v4, 2, v4
	s_sub_i32 s33, s35, s34
	v_mov_b32_e32 v6, 1
	s_mov_b32 s44, s33
	v_mov_b32_e32 v7, v4
	s_mov_b32 s45, s34
	s_branch .LBB10_38
.LBB10_37:                              ;   in Loop: Header=BB10_38 Depth=1
	s_or_b64 exec, exec, s[42:43]
	s_add_i32 s45, s45, 8
	s_add_i32 s44, s44, -8
	s_cmp_lt_u32 s45, s35
	v_add_u32_e32 v7, 0x1000, v7
	s_cbranch_scc0 .LBB10_40
.LBB10_38:                              ; =>This Inner Loop Header: Depth=1
	s_and_saveexec_b64 s[42:43], s[30:31]
	s_cbranch_execz .LBB10_37
; %bb.39:                               ;   in Loop: Header=BB10_38 Depth=1
	s_min_u32 s46, s44, 8
	v_lshrrev_b32_e32 v21, s45, v20
	v_bfe_u32 v21, v21, 0, s46
	v_lshl_add_u32 v21, v21, 4, v7
	ds_add_u32 v21, v6
	s_branch .LBB10_37
.LBB10_40:
	v_mov_b32_e32 v6, 1
	s_mov_b32 s42, s33
	v_mov_b32_e32 v7, v4
	s_mov_b32 s43, s34
	s_branch .LBB10_42
.LBB10_41:                              ;   in Loop: Header=BB10_42 Depth=1
	s_or_b64 exec, exec, s[30:31]
	s_add_i32 s43, s43, 8
	s_add_i32 s42, s42, -8
	s_cmp_lt_u32 s43, s35
	v_add_u32_e32 v7, 0x1000, v7
	s_cbranch_scc0 .LBB10_44
.LBB10_42:                              ; =>This Inner Loop Header: Depth=1
	s_and_saveexec_b64 s[30:31], s[28:29]
	s_cbranch_execz .LBB10_41
; %bb.43:                               ;   in Loop: Header=BB10_42 Depth=1
	s_min_u32 s44, s42, 8
	v_lshrrev_b32_e32 v20, s43, v19
	v_bfe_u32 v20, v20, 0, s44
	v_lshl_add_u32 v20, v20, 4, v7
	ds_add_u32 v20, v6
	s_branch .LBB10_41
.LBB10_44:
	;; [unrolled: 23-line block ×15, first 2 shown]
	v_mov_b32_e32 v3, 1
	s_mov_b32 s4, s34
	s_branch .LBB10_98
.LBB10_97:                              ;   in Loop: Header=BB10_98 Depth=1
	s_or_b64 exec, exec, s[2:3]
	s_add_i32 s4, s4, 8
	s_add_i32 s33, s33, -8
	s_cmp_lt_u32 s4, s35
	v_add_u32_e32 v4, 0x1000, v4
	s_cbranch_scc0 .LBB10_100
.LBB10_98:                              ; =>This Inner Loop Header: Depth=1
	s_and_saveexec_b64 s[2:3], s[0:1]
	s_cbranch_execz .LBB10_97
; %bb.99:                               ;   in Loop: Header=BB10_98 Depth=1
	s_min_u32 s5, s33, 8
	v_lshrrev_b32_e32 v5, s4, v1
	v_bfe_u32 v5, v5, 0, s5
	v_lshl_add_u32 v5, v5, 4, v4
	ds_add_u32 v5, v3
	s_branch .LBB10_97
.LBB10_100:
	s_and_b64 vcc, exec, s[40:41]
	s_waitcnt lgkmcnt(0)
	s_barrier
	s_cbranch_vccz .LBB10_105
; %bb.101:
	s_movk_i32 s0, 0x100
	v_cmp_gt_u32_e32 vcc, s0, v0
	v_lshlrev_b32_e32 v1, 4, v0
	v_mov_b32_e32 v5, 0
	v_mov_b32_e32 v4, v0
	s_mov_b32 s2, s34
	s_branch .LBB10_103
.LBB10_102:                             ;   in Loop: Header=BB10_103 Depth=1
	s_or_b64 exec, exec, s[0:1]
	s_add_i32 s2, s2, 8
	v_add_u32_e32 v4, 0x100, v4
	s_cmp_lt_u32 s2, s35
	v_add_u32_e32 v1, 0x1000, v1
	s_cbranch_scc0 .LBB10_105
.LBB10_103:                             ; =>This Inner Loop Header: Depth=1
	s_and_saveexec_b64 s[0:1], vcc
	s_cbranch_execz .LBB10_102
; %bb.104:                              ;   in Loop: Header=BB10_103 Depth=1
	ds_read2_b32 v[6:7], v1 offset1:1
	ds_read2_b32 v[8:9], v1 offset0:2 offset1:3
	v_lshl_add_u64 v[10:11], v[4:5], 3, s[38:39]
	s_waitcnt lgkmcnt(1)
	v_add_u32_e32 v3, v7, v6
	s_waitcnt lgkmcnt(0)
	v_add3_u32 v6, v3, v8, v9
	v_mov_b32_e32 v7, v5
	global_atomic_add_x2 v[10:11], v[6:7], off
	s_branch .LBB10_102
.LBB10_105:
	s_mov_b64 s[0:1], 0
.LBB10_106:
	s_and_b64 vcc, exec, s[0:1]
	s_cbranch_vccz .LBB10_154
; %bb.107:
	v_mov_b32_e32 v3, 0
	v_lshl_add_u64 v[12:13], s[36:37], 0, v[2:3]
	v_add_co_u32_e32 v14, vcc, 0x1000, v12
	s_cmp_eq_u32 s34, 0
	s_nop 0
	v_addc_co_u32_e32 v15, vcc, 0, v13, vcc
	v_add_co_u32_e32 v16, vcc, 0x2000, v12
	s_cselect_b64 s[0:1], -1, 0
	s_nop 0
	v_addc_co_u32_e32 v17, vcc, 0, v13, vcc
	v_add_co_u32_e32 v20, vcc, 0x3000, v12
	global_load_dword v1, v[14:15], off
	global_load_dword v4, v[14:15], off offset:1024
	global_load_dword v5, v[14:15], off offset:2048
	;; [unrolled: 1-line block ×3, first 2 shown]
	global_load_dword v7, v[16:17], off
	global_load_dword v8, v[16:17], off offset:1024
	global_load_dword v9, v[16:17], off offset:2048
	global_load_dword v10, v[16:17], off offset:3072
	v_addc_co_u32_e32 v21, vcc, 0, v13, vcc
	global_load_dword v15, v2, s[36:37]
	global_load_dword v16, v2, s[36:37] offset:1024
	global_load_dword v17, v2, s[36:37] offset:2048
	;; [unrolled: 1-line block ×3, first 2 shown]
	global_load_dword v11, v[20:21], off
	global_load_dword v12, v[20:21], off offset:1024
	global_load_dword v13, v[20:21], off offset:2048
	;; [unrolled: 1-line block ×3, first 2 shown]
	s_cmp_eq_u32 s35, 32
	s_cselect_b64 s[2:3], -1, 0
	s_and_b64 s[2:3], s[0:1], s[2:3]
	s_mov_b64 s[0:1], -1
	s_and_b64 vcc, exec, s[2:3]
	s_cbranch_vccnz .LBB10_149
; %bb.108:
	v_or_b32_e32 v19, 0xffffff00, v0
	s_mov_b64 s[0:1], 0
	s_movk_i32 s2, 0xeff
.LBB10_109:                             ; =>This Inner Loop Header: Depth=1
	v_add_u32_e32 v19, 0x100, v19
	v_cmp_lt_u32_e32 vcc, s2, v19
	ds_write_b32 v2, v3
	s_or_b64 s[0:1], vcc, s[0:1]
	v_add_u32_e32 v2, 0x400, v2
	s_andn2_b64 exec, exec, s[0:1]
	s_cbranch_execnz .LBB10_109
; %bb.110:
	s_or_b64 exec, exec, s[0:1]
	s_cmp_gt_u32 s35, s34
	s_cselect_b64 s[0:1], -1, 0
	s_cmp_le_u32 s35, s34
	s_waitcnt lgkmcnt(0)
	s_barrier
	s_cbranch_scc1 .LBB10_143
; %bb.111:
	v_and_b32_e32 v2, 3, v0
	v_lshlrev_b32_e32 v2, 2, v2
	s_sub_i32 s2, s35, s34
	s_waitcnt vmcnt(7)
	v_xor_b32_e32 v3, 0x7fffffff, v15
	v_mov_b32_e32 v19, 1
	s_mov_b32 s3, s2
	v_mov_b32_e32 v20, v2
	s_mov_b32 s4, s34
.LBB10_112:                             ; =>This Inner Loop Header: Depth=1
	s_min_u32 s5, s3, 8
	v_lshrrev_b32_e32 v21, s4, v3
	v_bfe_u32 v21, v21, 0, s5
	v_lshl_add_u32 v21, v21, 4, v20
	ds_add_u32 v21, v19
	s_add_i32 s4, s4, 8
	s_add_i32 s3, s3, -8
	s_cmp_lt_u32 s4, s35
	v_add_u32_e32 v20, 0x1000, v20
	s_cbranch_scc1 .LBB10_112
; %bb.113:
	s_waitcnt vmcnt(6)
	v_xor_b32_e32 v3, 0x7fffffff, v16
	v_mov_b32_e32 v19, 1
	s_mov_b32 s3, s2
	v_mov_b32_e32 v20, v2
	s_mov_b32 s4, s34
.LBB10_114:                             ; =>This Inner Loop Header: Depth=1
	s_min_u32 s5, s3, 8
	v_lshrrev_b32_e32 v21, s4, v3
	v_bfe_u32 v21, v21, 0, s5
	v_lshl_add_u32 v21, v21, 4, v20
	ds_add_u32 v21, v19
	s_add_i32 s4, s4, 8
	s_add_i32 s3, s3, -8
	s_cmp_lt_u32 s4, s35
	v_add_u32_e32 v20, 0x1000, v20
	s_cbranch_scc1 .LBB10_114
; %bb.115:
	s_waitcnt vmcnt(5)
	v_xor_b32_e32 v3, 0x7fffffff, v17
	v_mov_b32_e32 v19, 1
	s_mov_b32 s3, s2
	v_mov_b32_e32 v20, v2
	s_mov_b32 s4, s34
.LBB10_116:                             ; =>This Inner Loop Header: Depth=1
	s_min_u32 s5, s3, 8
	v_lshrrev_b32_e32 v21, s4, v3
	v_bfe_u32 v21, v21, 0, s5
	v_lshl_add_u32 v21, v21, 4, v20
	ds_add_u32 v21, v19
	s_add_i32 s4, s4, 8
	s_add_i32 s3, s3, -8
	s_cmp_lt_u32 s4, s35
	v_add_u32_e32 v20, 0x1000, v20
	s_cbranch_scc1 .LBB10_116
; %bb.117:
	s_waitcnt vmcnt(4)
	v_xor_b32_e32 v3, 0x7fffffff, v18
	v_mov_b32_e32 v19, 1
	s_mov_b32 s3, s2
	v_mov_b32_e32 v20, v2
	s_mov_b32 s4, s34
.LBB10_118:                             ; =>This Inner Loop Header: Depth=1
	s_min_u32 s5, s3, 8
	v_lshrrev_b32_e32 v21, s4, v3
	v_bfe_u32 v21, v21, 0, s5
	v_lshl_add_u32 v21, v21, 4, v20
	ds_add_u32 v21, v19
	s_add_i32 s4, s4, 8
	s_add_i32 s3, s3, -8
	s_cmp_lt_u32 s4, s35
	v_add_u32_e32 v20, 0x1000, v20
	s_cbranch_scc1 .LBB10_118
; %bb.119:
	v_xor_b32_e32 v3, 0x7fffffff, v1
	v_mov_b32_e32 v19, 1
	s_mov_b32 s3, s2
	v_mov_b32_e32 v20, v2
	s_mov_b32 s4, s34
.LBB10_120:                             ; =>This Inner Loop Header: Depth=1
	s_min_u32 s5, s3, 8
	v_lshrrev_b32_e32 v21, s4, v3
	v_bfe_u32 v21, v21, 0, s5
	v_lshl_add_u32 v21, v21, 4, v20
	ds_add_u32 v21, v19
	s_add_i32 s4, s4, 8
	s_add_i32 s3, s3, -8
	s_cmp_lt_u32 s4, s35
	v_add_u32_e32 v20, 0x1000, v20
	s_cbranch_scc1 .LBB10_120
; %bb.121:
	v_xor_b32_e32 v3, 0x7fffffff, v4
	v_mov_b32_e32 v19, 1
	s_mov_b32 s3, s2
	v_mov_b32_e32 v20, v2
	s_mov_b32 s4, s34
.LBB10_122:                             ; =>This Inner Loop Header: Depth=1
	s_min_u32 s5, s3, 8
	v_lshrrev_b32_e32 v21, s4, v3
	v_bfe_u32 v21, v21, 0, s5
	v_lshl_add_u32 v21, v21, 4, v20
	ds_add_u32 v21, v19
	s_add_i32 s4, s4, 8
	s_add_i32 s3, s3, -8
	s_cmp_lt_u32 s4, s35
	v_add_u32_e32 v20, 0x1000, v20
	s_cbranch_scc1 .LBB10_122
; %bb.123:
	;; [unrolled: 17-line block ×8, first 2 shown]
	s_waitcnt vmcnt(3)
	v_xor_b32_e32 v3, 0x7fffffff, v11
	v_mov_b32_e32 v19, 1
	s_mov_b32 s3, s2
	v_mov_b32_e32 v20, v2
	s_mov_b32 s4, s34
.LBB10_136:                             ; =>This Inner Loop Header: Depth=1
	s_min_u32 s5, s3, 8
	v_lshrrev_b32_e32 v21, s4, v3
	v_bfe_u32 v21, v21, 0, s5
	v_lshl_add_u32 v21, v21, 4, v20
	ds_add_u32 v21, v19
	s_add_i32 s4, s4, 8
	s_add_i32 s3, s3, -8
	s_cmp_lt_u32 s4, s35
	v_add_u32_e32 v20, 0x1000, v20
	s_cbranch_scc1 .LBB10_136
; %bb.137:
	s_waitcnt vmcnt(2)
	v_xor_b32_e32 v3, 0x7fffffff, v12
	v_mov_b32_e32 v19, 1
	s_mov_b32 s3, s2
	v_mov_b32_e32 v20, v2
	s_mov_b32 s4, s34
.LBB10_138:                             ; =>This Inner Loop Header: Depth=1
	s_min_u32 s5, s3, 8
	v_lshrrev_b32_e32 v21, s4, v3
	v_bfe_u32 v21, v21, 0, s5
	v_lshl_add_u32 v21, v21, 4, v20
	ds_add_u32 v21, v19
	s_add_i32 s4, s4, 8
	s_add_i32 s3, s3, -8
	s_cmp_lt_u32 s4, s35
	v_add_u32_e32 v20, 0x1000, v20
	s_cbranch_scc1 .LBB10_138
; %bb.139:
	s_waitcnt vmcnt(1)
	v_xor_b32_e32 v3, 0x7fffffff, v13
	v_mov_b32_e32 v19, 1
	s_mov_b32 s3, s2
	v_mov_b32_e32 v20, v2
	s_mov_b32 s4, s34
.LBB10_140:                             ; =>This Inner Loop Header: Depth=1
	s_min_u32 s5, s3, 8
	v_lshrrev_b32_e32 v21, s4, v3
	v_bfe_u32 v21, v21, 0, s5
	v_lshl_add_u32 v21, v21, 4, v20
	ds_add_u32 v21, v19
	s_add_i32 s4, s4, 8
	s_add_i32 s3, s3, -8
	s_cmp_lt_u32 s4, s35
	v_add_u32_e32 v20, 0x1000, v20
	s_cbranch_scc1 .LBB10_140
; %bb.141:
	s_waitcnt vmcnt(0)
	v_xor_b32_e32 v3, 0x7fffffff, v14
	v_mov_b32_e32 v19, 1
	s_mov_b32 s3, s34
.LBB10_142:                             ; =>This Inner Loop Header: Depth=1
	s_min_u32 s4, s2, 8
	v_lshrrev_b32_e32 v20, s3, v3
	v_bfe_u32 v20, v20, 0, s4
	v_lshl_add_u32 v20, v20, 4, v2
	ds_add_u32 v20, v19
	s_add_i32 s3, s3, 8
	s_add_i32 s2, s2, -8
	s_cmp_lt_u32 s3, s35
	v_add_u32_e32 v2, 0x1000, v2
	s_cbranch_scc1 .LBB10_142
.LBB10_143:
	s_and_b64 vcc, exec, s[0:1]
	s_waitcnt lgkmcnt(0)
	s_barrier
	s_cbranch_vccz .LBB10_148
; %bb.144:
	s_movk_i32 s0, 0x100
	v_cmp_gt_u32_e32 vcc, s0, v0
	v_lshlrev_b32_e32 v19, 4, v0
	v_mov_b32_e32 v3, 0
	v_mov_b32_e32 v2, v0
	s_branch .LBB10_146
.LBB10_145:                             ;   in Loop: Header=BB10_146 Depth=1
	s_or_b64 exec, exec, s[0:1]
	s_add_i32 s34, s34, 8
	v_add_u32_e32 v2, 0x100, v2
	s_cmp_ge_u32 s34, s35
	v_add_u32_e32 v19, 0x1000, v19
	s_cbranch_scc1 .LBB10_148
.LBB10_146:                             ; =>This Inner Loop Header: Depth=1
	s_and_saveexec_b64 s[0:1], vcc
	s_cbranch_execz .LBB10_145
; %bb.147:                              ;   in Loop: Header=BB10_146 Depth=1
	ds_read2_b32 v[20:21], v19 offset1:1
	ds_read2_b32 v[22:23], v19 offset0:2 offset1:3
	v_lshl_add_u64 v[24:25], v[2:3], 3, s[38:39]
	s_waitcnt lgkmcnt(1)
	v_add_u32_e32 v20, v21, v20
	s_waitcnt lgkmcnt(0)
	v_add3_u32 v20, v20, v22, v23
	v_mov_b32_e32 v21, v3
	global_atomic_add_x2 v[24:25], v[20:21], off
	s_branch .LBB10_145
.LBB10_148:
	s_mov_b64 s[0:1], 0
.LBB10_149:
	s_and_b64 vcc, exec, s[0:1]
	s_cbranch_vccz .LBB10_154
; %bb.150:
	v_or_b32_e32 v2, 0xffffff00, v0
	v_lshlrev_b32_e32 v3, 2, v0
	s_mov_b64 s[0:1], 0
	v_mov_b32_e32 v19, 0
	s_movk_i32 s2, 0xeff
.LBB10_151:                             ; =>This Inner Loop Header: Depth=1
	v_add_u32_e32 v2, 0x100, v2
	v_cmp_lt_u32_e32 vcc, s2, v2
	ds_write_b32 v3, v19
	s_or_b64 s[0:1], vcc, s[0:1]
	v_add_u32_e32 v3, 0x400, v3
	s_andn2_b64 exec, exec, s[0:1]
	s_cbranch_execnz .LBB10_151
; %bb.152:
	s_or_b64 exec, exec, s[0:1]
	s_waitcnt vmcnt(7)
	v_xor_b32_e32 v2, 0x7fffffff, v15
	s_waitcnt vmcnt(5)
	v_xor_b32_e32 v15, 0x7fffffff, v17
	v_and_b32_e32 v17, 3, v0
	v_xor_b32_e32 v3, 0x7fffffff, v16
	s_waitcnt vmcnt(4)
	v_xor_b32_e32 v16, 0x7fffffff, v18
	v_lshlrev_b32_e32 v18, 4, v2
	v_lshlrev_b32_e32 v17, 2, v17
	s_movk_i32 s0, 0xff0
	v_and_or_b32 v18, v18, s0, v17
	v_mov_b32_e32 v19, 1
	s_waitcnt lgkmcnt(0)
	s_barrier
	ds_add_u32 v18, v19
	v_bfe_u32 v18, v2, 8, 8
	v_lshl_or_b32 v18, v18, 4, v17
	ds_add_u32 v18, v19 offset:4096
	v_bfe_u32 v18, v2, 16, 8
	v_lshl_or_b32 v18, v18, 4, v17
	v_lshrrev_b32_e32 v2, 24, v2
	ds_add_u32 v18, v19 offset:8192
	v_lshl_or_b32 v2, v2, 4, v17
	ds_add_u32 v2, v19 offset:12288
	v_lshlrev_b32_e32 v2, 4, v3
	v_and_or_b32 v2, v2, s0, v17
	ds_add_u32 v2, v19
	v_bfe_u32 v2, v3, 8, 8
	v_lshl_or_b32 v2, v2, 4, v17
	ds_add_u32 v2, v19 offset:4096
	v_bfe_u32 v2, v3, 16, 8
	v_lshl_or_b32 v2, v2, 4, v17
	ds_add_u32 v2, v19 offset:8192
	v_lshrrev_b32_e32 v2, 24, v3
	v_lshl_or_b32 v2, v2, 4, v17
	ds_add_u32 v2, v19 offset:12288
	v_lshlrev_b32_e32 v2, 4, v15
	v_and_or_b32 v2, v2, s0, v17
	ds_add_u32 v2, v19
	v_bfe_u32 v2, v15, 8, 8
	v_lshl_or_b32 v2, v2, 4, v17
	ds_add_u32 v2, v19 offset:4096
	v_bfe_u32 v2, v15, 16, 8
	v_lshl_or_b32 v2, v2, 4, v17
	ds_add_u32 v2, v19 offset:8192
	v_lshrrev_b32_e32 v2, 24, v15
	;; [unrolled: 12-line block ×3, first 2 shown]
	v_xor_b32_e32 v1, 0x7fffffff, v1
	v_lshl_or_b32 v2, v2, 4, v17
	ds_add_u32 v2, v19 offset:12288
	v_lshlrev_b32_e32 v2, 4, v1
	v_and_or_b32 v2, v2, s0, v17
	ds_add_u32 v2, v19
	v_bfe_u32 v2, v1, 8, 8
	v_lshl_or_b32 v2, v2, 4, v17
	ds_add_u32 v2, v19 offset:4096
	v_bfe_u32 v2, v1, 16, 8
	v_lshl_or_b32 v2, v2, 4, v17
	v_lshrrev_b32_e32 v1, 24, v1
	v_xor_b32_e32 v4, 0x7fffffff, v4
	ds_add_u32 v2, v19 offset:8192
	v_lshl_or_b32 v1, v1, 4, v17
	ds_add_u32 v1, v19 offset:12288
	v_lshlrev_b32_e32 v1, 4, v4
	v_and_or_b32 v1, v1, s0, v17
	ds_add_u32 v1, v19
	v_bfe_u32 v1, v4, 8, 8
	v_lshl_or_b32 v1, v1, 4, v17
	ds_add_u32 v1, v19 offset:4096
	v_bfe_u32 v1, v4, 16, 8
	v_lshl_or_b32 v1, v1, 4, v17
	ds_add_u32 v1, v19 offset:8192
	v_lshrrev_b32_e32 v1, 24, v4
	v_xor_b32_e32 v5, 0x7fffffff, v5
	v_lshl_or_b32 v1, v1, 4, v17
	ds_add_u32 v1, v19 offset:12288
	v_lshlrev_b32_e32 v1, 4, v5
	v_and_or_b32 v1, v1, s0, v17
	ds_add_u32 v1, v19
	v_bfe_u32 v1, v5, 8, 8
	v_lshl_or_b32 v1, v1, 4, v17
	ds_add_u32 v1, v19 offset:4096
	v_bfe_u32 v1, v5, 16, 8
	v_lshl_or_b32 v1, v1, 4, v17
	ds_add_u32 v1, v19 offset:8192
	v_lshrrev_b32_e32 v1, 24, v5
	v_xor_b32_e32 v6, 0x7fffffff, v6
	;; [unrolled: 13-line block ×6, first 2 shown]
	v_lshl_or_b32 v1, v1, 4, v17
	ds_add_u32 v1, v19 offset:12288
	v_lshlrev_b32_e32 v1, 4, v10
	v_and_or_b32 v1, v1, s0, v17
	ds_add_u32 v1, v19
	v_bfe_u32 v1, v10, 8, 8
	v_lshl_or_b32 v1, v1, 4, v17
	ds_add_u32 v1, v19 offset:4096
	v_bfe_u32 v1, v10, 16, 8
	v_lshl_or_b32 v1, v1, 4, v17
	ds_add_u32 v1, v19 offset:8192
	v_lshrrev_b32_e32 v1, 24, v10
	s_waitcnt vmcnt(3)
	v_xor_b32_e32 v11, 0x7fffffff, v11
	v_lshl_or_b32 v1, v1, 4, v17
	ds_add_u32 v1, v19 offset:12288
	v_lshlrev_b32_e32 v1, 4, v11
	v_and_or_b32 v1, v1, s0, v17
	ds_add_u32 v1, v19
	v_bfe_u32 v1, v11, 8, 8
	v_lshl_or_b32 v1, v1, 4, v17
	ds_add_u32 v1, v19 offset:4096
	v_bfe_u32 v1, v11, 16, 8
	v_lshl_or_b32 v1, v1, 4, v17
	ds_add_u32 v1, v19 offset:8192
	v_lshrrev_b32_e32 v1, 24, v11
	s_waitcnt vmcnt(2)
	v_xor_b32_e32 v12, 0x7fffffff, v12
	;; [unrolled: 14-line block ×4, first 2 shown]
	v_lshl_or_b32 v1, v1, 4, v17
	ds_add_u32 v1, v19 offset:12288
	v_lshlrev_b32_e32 v1, 4, v14
	v_and_or_b32 v1, v1, s0, v17
	ds_add_u32 v1, v19
	v_bfe_u32 v1, v14, 8, 8
	v_lshl_or_b32 v1, v1, 4, v17
	ds_add_u32 v1, v19 offset:4096
	v_bfe_u32 v1, v14, 16, 8
	v_lshl_or_b32 v1, v1, 4, v17
	ds_add_u32 v1, v19 offset:8192
	v_lshrrev_b32_e32 v1, 24, v14
	v_lshl_or_b32 v1, v1, 4, v17
	ds_add_u32 v1, v19 offset:12288
	s_movk_i32 s0, 0x100
	v_cmp_gt_u32_e32 vcc, s0, v0
	s_waitcnt lgkmcnt(0)
	s_barrier
	s_and_saveexec_b64 s[0:1], vcc
	s_cbranch_execz .LBB10_154
; %bb.153:
	v_lshlrev_b32_e32 v8, 4, v0
	ds_read2_b32 v[2:3], v8 offset1:1
	ds_read2_b32 v[4:5], v8 offset0:2 offset1:3
	v_mov_b32_e32 v1, 0
	v_lshlrev_b32_e32 v0, 3, v0
	v_mov_b32_e32 v7, v1
	s_waitcnt lgkmcnt(1)
	v_add_u32_e32 v2, v3, v2
	s_waitcnt lgkmcnt(0)
	v_add3_u32 v6, v2, v4, v5
	global_atomic_add_x2 v0, v[6:7], s[38:39]
	v_or_b32_e32 v2, 0x1000, v8
	v_or_b32_e32 v4, 0x1008, v8
	ds_read2_b32 v[2:3], v2 offset1:1
	ds_read2_b32 v[4:5], v4 offset1:1
	s_movk_i32 s0, 0x1000
	s_waitcnt lgkmcnt(1)
	v_add_u32_e32 v2, v3, v2
	s_waitcnt lgkmcnt(0)
	v_add3_u32 v6, v2, v4, v5
	global_atomic_add_x2 v0, v[6:7], s[38:39] offset:2048
	v_or_b32_e32 v2, 0x2000, v8
	v_or_b32_e32 v4, 0x2008, v8
	ds_read2_b32 v[2:3], v2 offset1:1
	ds_read2_b32 v[4:5], v4 offset1:1
	v_lshl_add_u64 v[6:7], s[38:39], 0, v[0:1]
	s_waitcnt lgkmcnt(1)
	v_add_u32_e32 v0, v3, v2
	v_add_co_u32_e32 v2, vcc, s0, v6
	s_waitcnt lgkmcnt(0)
	v_add3_u32 v0, v0, v4, v5
	v_addc_co_u32_e32 v3, vcc, 0, v7, vcc
	global_atomic_add_x2 v[2:3], v[0:1], off
	v_or_b32_e32 v0, 0x3000, v8
	v_or_b32_e32 v6, 0x3008, v8
	ds_read2_b32 v[4:5], v0 offset1:1
	ds_read2_b32 v[6:7], v6 offset1:1
	s_waitcnt lgkmcnt(1)
	v_add_u32_e32 v0, v5, v4
	s_waitcnt lgkmcnt(0)
	v_add3_u32 v0, v0, v6, v7
	global_atomic_add_x2 v[2:3], v[0:1], off offset:2048
.LBB10_154:
	s_endpgm
	.section	.rodata,"a",@progbits
	.p2align	6, 0x0
	.amdhsa_kernel _ZN7rocprim17ROCPRIM_304000_NS6detail26onesweep_histograms_kernelINS1_34wrapped_radix_sort_onesweep_configINS0_14default_configEiN2at4cuda3cub6detail10OpaqueTypeILi2EEEEELb1EPKimNS0_19identity_decomposerEEEvT1_PT2_SG_SG_T3_jj
		.amdhsa_group_segment_fixed_size 16384
		.amdhsa_private_segment_fixed_size 0
		.amdhsa_kernarg_size 44
		.amdhsa_user_sgpr_count 2
		.amdhsa_user_sgpr_dispatch_ptr 0
		.amdhsa_user_sgpr_queue_ptr 0
		.amdhsa_user_sgpr_kernarg_segment_ptr 1
		.amdhsa_user_sgpr_dispatch_id 0
		.amdhsa_user_sgpr_kernarg_preload_length 0
		.amdhsa_user_sgpr_kernarg_preload_offset 0
		.amdhsa_user_sgpr_private_segment_size 0
		.amdhsa_uses_dynamic_stack 0
		.amdhsa_enable_private_segment 0
		.amdhsa_system_sgpr_workgroup_id_x 1
		.amdhsa_system_sgpr_workgroup_id_y 0
		.amdhsa_system_sgpr_workgroup_id_z 0
		.amdhsa_system_sgpr_workgroup_info 0
		.amdhsa_system_vgpr_workitem_id 0
		.amdhsa_next_free_vgpr 26
		.amdhsa_next_free_sgpr 47
		.amdhsa_accum_offset 28
		.amdhsa_reserve_vcc 1
		.amdhsa_float_round_mode_32 0
		.amdhsa_float_round_mode_16_64 0
		.amdhsa_float_denorm_mode_32 3
		.amdhsa_float_denorm_mode_16_64 3
		.amdhsa_dx10_clamp 1
		.amdhsa_ieee_mode 1
		.amdhsa_fp16_overflow 0
		.amdhsa_tg_split 0
		.amdhsa_exception_fp_ieee_invalid_op 0
		.amdhsa_exception_fp_denorm_src 0
		.amdhsa_exception_fp_ieee_div_zero 0
		.amdhsa_exception_fp_ieee_overflow 0
		.amdhsa_exception_fp_ieee_underflow 0
		.amdhsa_exception_fp_ieee_inexact 0
		.amdhsa_exception_int_div_zero 0
	.end_amdhsa_kernel
	.section	.text._ZN7rocprim17ROCPRIM_304000_NS6detail26onesweep_histograms_kernelINS1_34wrapped_radix_sort_onesweep_configINS0_14default_configEiN2at4cuda3cub6detail10OpaqueTypeILi2EEEEELb1EPKimNS0_19identity_decomposerEEEvT1_PT2_SG_SG_T3_jj,"axG",@progbits,_ZN7rocprim17ROCPRIM_304000_NS6detail26onesweep_histograms_kernelINS1_34wrapped_radix_sort_onesweep_configINS0_14default_configEiN2at4cuda3cub6detail10OpaqueTypeILi2EEEEELb1EPKimNS0_19identity_decomposerEEEvT1_PT2_SG_SG_T3_jj,comdat
.Lfunc_end10:
	.size	_ZN7rocprim17ROCPRIM_304000_NS6detail26onesweep_histograms_kernelINS1_34wrapped_radix_sort_onesweep_configINS0_14default_configEiN2at4cuda3cub6detail10OpaqueTypeILi2EEEEELb1EPKimNS0_19identity_decomposerEEEvT1_PT2_SG_SG_T3_jj, .Lfunc_end10-_ZN7rocprim17ROCPRIM_304000_NS6detail26onesweep_histograms_kernelINS1_34wrapped_radix_sort_onesweep_configINS0_14default_configEiN2at4cuda3cub6detail10OpaqueTypeILi2EEEEELb1EPKimNS0_19identity_decomposerEEEvT1_PT2_SG_SG_T3_jj
                                        ; -- End function
	.set _ZN7rocprim17ROCPRIM_304000_NS6detail26onesweep_histograms_kernelINS1_34wrapped_radix_sort_onesweep_configINS0_14default_configEiN2at4cuda3cub6detail10OpaqueTypeILi2EEEEELb1EPKimNS0_19identity_decomposerEEEvT1_PT2_SG_SG_T3_jj.num_vgpr, 26
	.set _ZN7rocprim17ROCPRIM_304000_NS6detail26onesweep_histograms_kernelINS1_34wrapped_radix_sort_onesweep_configINS0_14default_configEiN2at4cuda3cub6detail10OpaqueTypeILi2EEEEELb1EPKimNS0_19identity_decomposerEEEvT1_PT2_SG_SG_T3_jj.num_agpr, 0
	.set _ZN7rocprim17ROCPRIM_304000_NS6detail26onesweep_histograms_kernelINS1_34wrapped_radix_sort_onesweep_configINS0_14default_configEiN2at4cuda3cub6detail10OpaqueTypeILi2EEEEELb1EPKimNS0_19identity_decomposerEEEvT1_PT2_SG_SG_T3_jj.numbered_sgpr, 47
	.set _ZN7rocprim17ROCPRIM_304000_NS6detail26onesweep_histograms_kernelINS1_34wrapped_radix_sort_onesweep_configINS0_14default_configEiN2at4cuda3cub6detail10OpaqueTypeILi2EEEEELb1EPKimNS0_19identity_decomposerEEEvT1_PT2_SG_SG_T3_jj.num_named_barrier, 0
	.set _ZN7rocprim17ROCPRIM_304000_NS6detail26onesweep_histograms_kernelINS1_34wrapped_radix_sort_onesweep_configINS0_14default_configEiN2at4cuda3cub6detail10OpaqueTypeILi2EEEEELb1EPKimNS0_19identity_decomposerEEEvT1_PT2_SG_SG_T3_jj.private_seg_size, 0
	.set _ZN7rocprim17ROCPRIM_304000_NS6detail26onesweep_histograms_kernelINS1_34wrapped_radix_sort_onesweep_configINS0_14default_configEiN2at4cuda3cub6detail10OpaqueTypeILi2EEEEELb1EPKimNS0_19identity_decomposerEEEvT1_PT2_SG_SG_T3_jj.uses_vcc, 1
	.set _ZN7rocprim17ROCPRIM_304000_NS6detail26onesweep_histograms_kernelINS1_34wrapped_radix_sort_onesweep_configINS0_14default_configEiN2at4cuda3cub6detail10OpaqueTypeILi2EEEEELb1EPKimNS0_19identity_decomposerEEEvT1_PT2_SG_SG_T3_jj.uses_flat_scratch, 0
	.set _ZN7rocprim17ROCPRIM_304000_NS6detail26onesweep_histograms_kernelINS1_34wrapped_radix_sort_onesweep_configINS0_14default_configEiN2at4cuda3cub6detail10OpaqueTypeILi2EEEEELb1EPKimNS0_19identity_decomposerEEEvT1_PT2_SG_SG_T3_jj.has_dyn_sized_stack, 0
	.set _ZN7rocprim17ROCPRIM_304000_NS6detail26onesweep_histograms_kernelINS1_34wrapped_radix_sort_onesweep_configINS0_14default_configEiN2at4cuda3cub6detail10OpaqueTypeILi2EEEEELb1EPKimNS0_19identity_decomposerEEEvT1_PT2_SG_SG_T3_jj.has_recursion, 0
	.set _ZN7rocprim17ROCPRIM_304000_NS6detail26onesweep_histograms_kernelINS1_34wrapped_radix_sort_onesweep_configINS0_14default_configEiN2at4cuda3cub6detail10OpaqueTypeILi2EEEEELb1EPKimNS0_19identity_decomposerEEEvT1_PT2_SG_SG_T3_jj.has_indirect_call, 0
	.section	.AMDGPU.csdata,"",@progbits
; Kernel info:
; codeLenInByte = 6464
; TotalNumSgprs: 53
; NumVgprs: 26
; NumAgprs: 0
; TotalNumVgprs: 26
; ScratchSize: 0
; MemoryBound: 0
; FloatMode: 240
; IeeeMode: 1
; LDSByteSize: 16384 bytes/workgroup (compile time only)
; SGPRBlocks: 6
; VGPRBlocks: 3
; NumSGPRsForWavesPerEU: 53
; NumVGPRsForWavesPerEU: 26
; AccumOffset: 28
; Occupancy: 8
; WaveLimiterHint : 1
; COMPUTE_PGM_RSRC2:SCRATCH_EN: 0
; COMPUTE_PGM_RSRC2:USER_SGPR: 2
; COMPUTE_PGM_RSRC2:TRAP_HANDLER: 0
; COMPUTE_PGM_RSRC2:TGID_X_EN: 1
; COMPUTE_PGM_RSRC2:TGID_Y_EN: 0
; COMPUTE_PGM_RSRC2:TGID_Z_EN: 0
; COMPUTE_PGM_RSRC2:TIDIG_COMP_CNT: 0
; COMPUTE_PGM_RSRC3_GFX90A:ACCUM_OFFSET: 6
; COMPUTE_PGM_RSRC3_GFX90A:TG_SPLIT: 0
	.section	.text._ZN7rocprim17ROCPRIM_304000_NS6detail31onesweep_scan_histograms_kernelINS1_34wrapped_radix_sort_onesweep_configINS0_14default_configEiN2at4cuda3cub6detail10OpaqueTypeILi2EEEEEmEEvPT0_,"axG",@progbits,_ZN7rocprim17ROCPRIM_304000_NS6detail31onesweep_scan_histograms_kernelINS1_34wrapped_radix_sort_onesweep_configINS0_14default_configEiN2at4cuda3cub6detail10OpaqueTypeILi2EEEEEmEEvPT0_,comdat
	.protected	_ZN7rocprim17ROCPRIM_304000_NS6detail31onesweep_scan_histograms_kernelINS1_34wrapped_radix_sort_onesweep_configINS0_14default_configEiN2at4cuda3cub6detail10OpaqueTypeILi2EEEEEmEEvPT0_ ; -- Begin function _ZN7rocprim17ROCPRIM_304000_NS6detail31onesweep_scan_histograms_kernelINS1_34wrapped_radix_sort_onesweep_configINS0_14default_configEiN2at4cuda3cub6detail10OpaqueTypeILi2EEEEEmEEvPT0_
	.globl	_ZN7rocprim17ROCPRIM_304000_NS6detail31onesweep_scan_histograms_kernelINS1_34wrapped_radix_sort_onesweep_configINS0_14default_configEiN2at4cuda3cub6detail10OpaqueTypeILi2EEEEEmEEvPT0_
	.p2align	8
	.type	_ZN7rocprim17ROCPRIM_304000_NS6detail31onesweep_scan_histograms_kernelINS1_34wrapped_radix_sort_onesweep_configINS0_14default_configEiN2at4cuda3cub6detail10OpaqueTypeILi2EEEEEmEEvPT0_,@function
_ZN7rocprim17ROCPRIM_304000_NS6detail31onesweep_scan_histograms_kernelINS1_34wrapped_radix_sort_onesweep_configINS0_14default_configEiN2at4cuda3cub6detail10OpaqueTypeILi2EEEEEmEEvPT0_: ; @_ZN7rocprim17ROCPRIM_304000_NS6detail31onesweep_scan_histograms_kernelINS1_34wrapped_radix_sort_onesweep_configINS0_14default_configEiN2at4cuda3cub6detail10OpaqueTypeILi2EEEEEmEEvPT0_
; %bb.0:
	s_load_dwordx2 s[0:1], s[0:1], 0x0
	s_lshl_b32 s2, s2, 8
	s_mov_b32 s3, 0
	s_lshl_b64 s[2:3], s[2:3], 3
	v_lshlrev_b32_e32 v8, 3, v0
	s_waitcnt lgkmcnt(0)
	s_add_u32 s6, s0, s2
	s_movk_i32 s0, 0x100
	s_addc_u32 s7, s1, s3
	v_cmp_gt_u32_e32 vcc, s0, v0
                                        ; implicit-def: $vgpr2_vgpr3
	s_and_saveexec_b64 s[0:1], vcc
	s_cbranch_execz .LBB11_2
; %bb.1:
	global_load_dwordx2 v[2:3], v8, s[6:7]
.LBB11_2:
	s_or_b64 exec, exec, s[0:1]
	v_mbcnt_lo_u32_b32 v1, -1, 0
	v_mov_b32_e32 v6, 0
	v_mbcnt_hi_u32_b32 v9, -1, v1
	s_waitcnt vmcnt(0)
	v_mov_b32_dpp v4, v2 row_shr:1 row_mask:0xf bank_mask:0xf
	v_mov_b32_e32 v5, v6
	v_and_b32_e32 v1, 15, v9
	v_mov_b32_dpp v7, v3 row_shr:1 row_mask:0xf bank_mask:0xf
	v_lshl_add_u64 v[4:5], v[2:3], 0, v[4:5]
	v_lshl_add_u64 v[6:7], v[6:7], 0, v[4:5]
	v_cmp_eq_u32_e64 s[0:1], 0, v1
	v_cmp_ne_u32_e64 s[4:5], 0, v9
	s_nop 0
	v_cndmask_b32_e64 v10, v4, v2, s[0:1]
	v_cndmask_b32_e64 v5, v7, v3, s[0:1]
	v_cndmask_b32_e64 v4, v6, v2, s[0:1]
	v_mov_b32_dpp v6, v10 row_shr:2 row_mask:0xf bank_mask:0xf
	v_mov_b32_dpp v7, v5 row_shr:2 row_mask:0xf bank_mask:0xf
	v_lshl_add_u64 v[6:7], v[6:7], 0, v[4:5]
	v_cmp_lt_u32_e64 s[0:1], 1, v1
	s_nop 1
	v_cndmask_b32_e64 v10, v10, v6, s[0:1]
	v_cndmask_b32_e64 v5, v5, v7, s[0:1]
	v_cndmask_b32_e64 v4, v4, v6, s[0:1]
	v_mov_b32_dpp v6, v10 row_shr:4 row_mask:0xf bank_mask:0xf
	v_mov_b32_dpp v7, v5 row_shr:4 row_mask:0xf bank_mask:0xf
	v_lshl_add_u64 v[6:7], v[6:7], 0, v[4:5]
	v_cmp_lt_u32_e64 s[0:1], 3, v1
	;; [unrolled: 8-line block ×3, first 2 shown]
	s_nop 1
	v_cndmask_b32_e64 v1, v10, v6, s[0:1]
	v_cndmask_b32_e64 v5, v5, v7, s[0:1]
	v_cndmask_b32_e64 v4, v4, v6, s[0:1]
	v_mov_b32_dpp v6, v1 row_bcast:15 row_mask:0xf bank_mask:0xf
	v_mov_b32_dpp v7, v5 row_bcast:15 row_mask:0xf bank_mask:0xf
	v_and_b32_e32 v10, 16, v9
	v_lshl_add_u64 v[6:7], v[6:7], 0, v[4:5]
	v_cmp_eq_u32_e64 s[2:3], 0, v10
	v_cmp_eq_u32_e64 s[0:1], 0, v9
	s_nop 0
	v_cndmask_b32_e64 v10, v7, v5, s[2:3]
	v_cndmask_b32_e64 v1, v6, v1, s[2:3]
	s_nop 0
	v_mov_b32_dpp v10, v10 row_bcast:31 row_mask:0xf bank_mask:0xf
	v_mov_b32_dpp v1, v1 row_bcast:31 row_mask:0xf bank_mask:0xf
	s_and_saveexec_b64 s[8:9], s[4:5]
; %bb.3:
	v_cndmask_b32_e64 v3, v7, v5, s[2:3]
	v_cndmask_b32_e64 v2, v6, v4, s[2:3]
	v_cmp_lt_u32_e64 s[2:3], 31, v9
	s_nop 1
	v_cndmask_b32_e64 v5, 0, v10, s[2:3]
	v_cndmask_b32_e64 v4, 0, v1, s[2:3]
	v_lshl_add_u64 v[2:3], v[4:5], 0, v[2:3]
; %bb.4:
	s_or_b64 exec, exec, s[8:9]
	v_or_b32_e32 v1, 63, v0
	v_lshrrev_b32_e32 v4, 6, v0
	v_cmp_eq_u32_e64 s[2:3], v0, v1
	s_and_saveexec_b64 s[4:5], s[2:3]
; %bb.5:
	v_lshlrev_b32_e32 v1, 3, v4
	ds_write_b64 v1, v[2:3]
; %bb.6:
	s_or_b64 exec, exec, s[4:5]
	v_cmp_gt_u32_e64 s[2:3], 4, v0
	s_waitcnt lgkmcnt(0)
	s_barrier
	s_and_saveexec_b64 s[4:5], s[2:3]
	s_cbranch_execz .LBB11_8
; %bb.7:
	ds_read_b64 v[6:7], v8
	v_mov_b32_e32 v10, 0
	v_mov_b32_e32 v13, v10
	v_and_b32_e32 v1, 3, v9
	v_cmp_eq_u32_e64 s[2:3], 0, v1
	s_waitcnt lgkmcnt(0)
	v_mov_b32_dpp v12, v6 row_shr:1 row_mask:0xf bank_mask:0xf
	v_mov_b32_dpp v11, v7 row_shr:1 row_mask:0xf bank_mask:0xf
	v_lshl_add_u64 v[12:13], v[6:7], 0, v[12:13]
	v_lshl_add_u64 v[10:11], v[10:11], 0, v[12:13]
	v_cndmask_b32_e64 v11, v11, v7, s[2:3]
	v_cndmask_b32_e64 v5, v12, v6, s[2:3]
	v_cndmask_b32_e64 v10, v10, v6, s[2:3]
	v_mov_b32_dpp v7, v11 row_shr:2 row_mask:0xf bank_mask:0xf
	v_mov_b32_dpp v5, v5 row_shr:2 row_mask:0xf bank_mask:0xf
	v_cmp_lt_u32_e64 s[2:3], 1, v1
	s_nop 1
	v_cndmask_b32_e64 v6, 0, v5, s[2:3]
	v_cndmask_b32_e64 v7, 0, v7, s[2:3]
	v_lshl_add_u64 v[6:7], v[6:7], 0, v[10:11]
	ds_write_b64 v8, v[6:7]
.LBB11_8:
	s_or_b64 exec, exec, s[4:5]
	v_cmp_lt_u32_e64 s[2:3], 63, v0
	v_mov_b64_e32 v[0:1], 0
	s_waitcnt lgkmcnt(0)
	s_barrier
	s_and_saveexec_b64 s[4:5], s[2:3]
; %bb.9:
	v_lshl_add_u32 v0, v4, 3, -8
	ds_read_b64 v[0:1], v0
; %bb.10:
	s_or_b64 exec, exec, s[4:5]
	v_add_u32_e32 v4, -1, v9
	v_and_b32_e32 v5, 64, v9
	v_cmp_lt_i32_e64 s[2:3], v4, v5
	s_waitcnt lgkmcnt(0)
	v_lshl_add_u64 v[2:3], v[0:1], 0, v[2:3]
	v_cndmask_b32_e64 v4, v4, v9, s[2:3]
	v_lshlrev_b32_e32 v4, 2, v4
	ds_bpermute_b32 v2, v4, v2
	ds_bpermute_b32 v3, v4, v3
	s_and_saveexec_b64 s[2:3], vcc
	s_cbranch_execz .LBB11_12
; %bb.11:
	s_waitcnt lgkmcnt(0)
	v_cndmask_b32_e64 v1, v3, v1, s[0:1]
	v_cndmask_b32_e64 v0, v2, v0, s[0:1]
	global_store_dwordx2 v8, v[0:1], s[6:7]
.LBB11_12:
	s_endpgm
	.section	.rodata,"a",@progbits
	.p2align	6, 0x0
	.amdhsa_kernel _ZN7rocprim17ROCPRIM_304000_NS6detail31onesweep_scan_histograms_kernelINS1_34wrapped_radix_sort_onesweep_configINS0_14default_configEiN2at4cuda3cub6detail10OpaqueTypeILi2EEEEEmEEvPT0_
		.amdhsa_group_segment_fixed_size 32
		.amdhsa_private_segment_fixed_size 0
		.amdhsa_kernarg_size 8
		.amdhsa_user_sgpr_count 2
		.amdhsa_user_sgpr_dispatch_ptr 0
		.amdhsa_user_sgpr_queue_ptr 0
		.amdhsa_user_sgpr_kernarg_segment_ptr 1
		.amdhsa_user_sgpr_dispatch_id 0
		.amdhsa_user_sgpr_kernarg_preload_length 0
		.amdhsa_user_sgpr_kernarg_preload_offset 0
		.amdhsa_user_sgpr_private_segment_size 0
		.amdhsa_uses_dynamic_stack 0
		.amdhsa_enable_private_segment 0
		.amdhsa_system_sgpr_workgroup_id_x 1
		.amdhsa_system_sgpr_workgroup_id_y 0
		.amdhsa_system_sgpr_workgroup_id_z 0
		.amdhsa_system_sgpr_workgroup_info 0
		.amdhsa_system_vgpr_workitem_id 0
		.amdhsa_next_free_vgpr 14
		.amdhsa_next_free_sgpr 10
		.amdhsa_accum_offset 16
		.amdhsa_reserve_vcc 1
		.amdhsa_float_round_mode_32 0
		.amdhsa_float_round_mode_16_64 0
		.amdhsa_float_denorm_mode_32 3
		.amdhsa_float_denorm_mode_16_64 3
		.amdhsa_dx10_clamp 1
		.amdhsa_ieee_mode 1
		.amdhsa_fp16_overflow 0
		.amdhsa_tg_split 0
		.amdhsa_exception_fp_ieee_invalid_op 0
		.amdhsa_exception_fp_denorm_src 0
		.amdhsa_exception_fp_ieee_div_zero 0
		.amdhsa_exception_fp_ieee_overflow 0
		.amdhsa_exception_fp_ieee_underflow 0
		.amdhsa_exception_fp_ieee_inexact 0
		.amdhsa_exception_int_div_zero 0
	.end_amdhsa_kernel
	.section	.text._ZN7rocprim17ROCPRIM_304000_NS6detail31onesweep_scan_histograms_kernelINS1_34wrapped_radix_sort_onesweep_configINS0_14default_configEiN2at4cuda3cub6detail10OpaqueTypeILi2EEEEEmEEvPT0_,"axG",@progbits,_ZN7rocprim17ROCPRIM_304000_NS6detail31onesweep_scan_histograms_kernelINS1_34wrapped_radix_sort_onesweep_configINS0_14default_configEiN2at4cuda3cub6detail10OpaqueTypeILi2EEEEEmEEvPT0_,comdat
.Lfunc_end11:
	.size	_ZN7rocprim17ROCPRIM_304000_NS6detail31onesweep_scan_histograms_kernelINS1_34wrapped_radix_sort_onesweep_configINS0_14default_configEiN2at4cuda3cub6detail10OpaqueTypeILi2EEEEEmEEvPT0_, .Lfunc_end11-_ZN7rocprim17ROCPRIM_304000_NS6detail31onesweep_scan_histograms_kernelINS1_34wrapped_radix_sort_onesweep_configINS0_14default_configEiN2at4cuda3cub6detail10OpaqueTypeILi2EEEEEmEEvPT0_
                                        ; -- End function
	.set _ZN7rocprim17ROCPRIM_304000_NS6detail31onesweep_scan_histograms_kernelINS1_34wrapped_radix_sort_onesweep_configINS0_14default_configEiN2at4cuda3cub6detail10OpaqueTypeILi2EEEEEmEEvPT0_.num_vgpr, 14
	.set _ZN7rocprim17ROCPRIM_304000_NS6detail31onesweep_scan_histograms_kernelINS1_34wrapped_radix_sort_onesweep_configINS0_14default_configEiN2at4cuda3cub6detail10OpaqueTypeILi2EEEEEmEEvPT0_.num_agpr, 0
	.set _ZN7rocprim17ROCPRIM_304000_NS6detail31onesweep_scan_histograms_kernelINS1_34wrapped_radix_sort_onesweep_configINS0_14default_configEiN2at4cuda3cub6detail10OpaqueTypeILi2EEEEEmEEvPT0_.numbered_sgpr, 10
	.set _ZN7rocprim17ROCPRIM_304000_NS6detail31onesweep_scan_histograms_kernelINS1_34wrapped_radix_sort_onesweep_configINS0_14default_configEiN2at4cuda3cub6detail10OpaqueTypeILi2EEEEEmEEvPT0_.num_named_barrier, 0
	.set _ZN7rocprim17ROCPRIM_304000_NS6detail31onesweep_scan_histograms_kernelINS1_34wrapped_radix_sort_onesweep_configINS0_14default_configEiN2at4cuda3cub6detail10OpaqueTypeILi2EEEEEmEEvPT0_.private_seg_size, 0
	.set _ZN7rocprim17ROCPRIM_304000_NS6detail31onesweep_scan_histograms_kernelINS1_34wrapped_radix_sort_onesweep_configINS0_14default_configEiN2at4cuda3cub6detail10OpaqueTypeILi2EEEEEmEEvPT0_.uses_vcc, 1
	.set _ZN7rocprim17ROCPRIM_304000_NS6detail31onesweep_scan_histograms_kernelINS1_34wrapped_radix_sort_onesweep_configINS0_14default_configEiN2at4cuda3cub6detail10OpaqueTypeILi2EEEEEmEEvPT0_.uses_flat_scratch, 0
	.set _ZN7rocprim17ROCPRIM_304000_NS6detail31onesweep_scan_histograms_kernelINS1_34wrapped_radix_sort_onesweep_configINS0_14default_configEiN2at4cuda3cub6detail10OpaqueTypeILi2EEEEEmEEvPT0_.has_dyn_sized_stack, 0
	.set _ZN7rocprim17ROCPRIM_304000_NS6detail31onesweep_scan_histograms_kernelINS1_34wrapped_radix_sort_onesweep_configINS0_14default_configEiN2at4cuda3cub6detail10OpaqueTypeILi2EEEEEmEEvPT0_.has_recursion, 0
	.set _ZN7rocprim17ROCPRIM_304000_NS6detail31onesweep_scan_histograms_kernelINS1_34wrapped_radix_sort_onesweep_configINS0_14default_configEiN2at4cuda3cub6detail10OpaqueTypeILi2EEEEEmEEvPT0_.has_indirect_call, 0
	.section	.AMDGPU.csdata,"",@progbits
; Kernel info:
; codeLenInByte = 848
; TotalNumSgprs: 16
; NumVgprs: 14
; NumAgprs: 0
; TotalNumVgprs: 14
; ScratchSize: 0
; MemoryBound: 0
; FloatMode: 240
; IeeeMode: 1
; LDSByteSize: 32 bytes/workgroup (compile time only)
; SGPRBlocks: 1
; VGPRBlocks: 1
; NumSGPRsForWavesPerEU: 16
; NumVGPRsForWavesPerEU: 14
; AccumOffset: 16
; Occupancy: 8
; WaveLimiterHint : 0
; COMPUTE_PGM_RSRC2:SCRATCH_EN: 0
; COMPUTE_PGM_RSRC2:USER_SGPR: 2
; COMPUTE_PGM_RSRC2:TRAP_HANDLER: 0
; COMPUTE_PGM_RSRC2:TGID_X_EN: 1
; COMPUTE_PGM_RSRC2:TGID_Y_EN: 0
; COMPUTE_PGM_RSRC2:TGID_Z_EN: 0
; COMPUTE_PGM_RSRC2:TIDIG_COMP_CNT: 0
; COMPUTE_PGM_RSRC3_GFX90A:ACCUM_OFFSET: 3
; COMPUTE_PGM_RSRC3_GFX90A:TG_SPLIT: 0
	.section	.text._ZN7rocprim17ROCPRIM_304000_NS6detail16transform_kernelINS1_24wrapped_transform_configINS0_14default_configEiEEiPKiPiNS0_8identityIiEEEEvT1_mT2_T3_,"axG",@progbits,_ZN7rocprim17ROCPRIM_304000_NS6detail16transform_kernelINS1_24wrapped_transform_configINS0_14default_configEiEEiPKiPiNS0_8identityIiEEEEvT1_mT2_T3_,comdat
	.protected	_ZN7rocprim17ROCPRIM_304000_NS6detail16transform_kernelINS1_24wrapped_transform_configINS0_14default_configEiEEiPKiPiNS0_8identityIiEEEEvT1_mT2_T3_ ; -- Begin function _ZN7rocprim17ROCPRIM_304000_NS6detail16transform_kernelINS1_24wrapped_transform_configINS0_14default_configEiEEiPKiPiNS0_8identityIiEEEEvT1_mT2_T3_
	.globl	_ZN7rocprim17ROCPRIM_304000_NS6detail16transform_kernelINS1_24wrapped_transform_configINS0_14default_configEiEEiPKiPiNS0_8identityIiEEEEvT1_mT2_T3_
	.p2align	8
	.type	_ZN7rocprim17ROCPRIM_304000_NS6detail16transform_kernelINS1_24wrapped_transform_configINS0_14default_configEiEEiPKiPiNS0_8identityIiEEEEvT1_mT2_T3_,@function
_ZN7rocprim17ROCPRIM_304000_NS6detail16transform_kernelINS1_24wrapped_transform_configINS0_14default_configEiEEiPKiPiNS0_8identityIiEEEEvT1_mT2_T3_: ; @_ZN7rocprim17ROCPRIM_304000_NS6detail16transform_kernelINS1_24wrapped_transform_configINS0_14default_configEiEEiPKiPiNS0_8identityIiEEEEvT1_mT2_T3_
; %bb.0:
	s_load_dword s3, s[0:1], 0x20
	s_load_dwordx4 s[4:7], s[0:1], 0x0
	s_load_dwordx2 s[8:9], s[0:1], 0x10
	s_lshl_b32 s0, s2, 8
	s_mov_b32 s1, 0
	s_waitcnt lgkmcnt(0)
	s_add_i32 s3, s3, -1
	s_lshl_b64 s[10:11], s[0:1], 2
	s_add_u32 s4, s4, s10
	s_addc_u32 s5, s5, s11
	v_mov_b32_e32 v3, 0
	v_lshlrev_b32_e32 v2, 2, v0
	s_cmp_lg_u32 s2, s3
	v_lshl_add_u64 v[4:5], s[4:5], 0, v[2:3]
	s_cbranch_scc0 .LBB12_2
; %bb.1:
	global_load_dword v3, v[4:5], off
	global_load_dword v1, v[4:5], off offset:512
	s_add_u32 s2, s8, s10
	s_addc_u32 s3, s9, s11
	s_waitcnt vmcnt(1)
	global_store_dword v2, v3, s[2:3]
	s_mov_b64 s[2:3], -1
	s_cbranch_execz .LBB12_3
	s_branch .LBB12_10
.LBB12_2:
	s_mov_b64 s[2:3], 0
                                        ; implicit-def: $vgpr1
.LBB12_3:
	s_sub_i32 s4, s6, s0
	v_mov_b32_e32 v6, 0
	v_cmp_gt_u32_e32 vcc, s4, v0
	v_mov_b32_e32 v7, v6
	s_and_saveexec_b64 s[0:1], vcc
	s_cbranch_execz .LBB12_5
; %bb.4:
	global_load_dword v8, v[4:5], off
	v_mov_b32_e32 v9, v6
	s_waitcnt vmcnt(0)
	v_mov_b64_e32 v[6:7], v[8:9]
.LBB12_5:
	s_or_b64 exec, exec, s[0:1]
	v_or_b32_e32 v0, 0x80, v0
	v_cmp_gt_u32_e64 s[0:1], s4, v0
	s_and_saveexec_b64 s[4:5], s[0:1]
	s_cbranch_execnz .LBB12_13
; %bb.6:
	s_or_b64 exec, exec, s[4:5]
	v_cndmask_b32_e32 v0, 0, v6, vcc
	s_and_saveexec_b64 s[4:5], vcc
	s_cbranch_execnz .LBB12_14
.LBB12_7:
	s_or_b64 exec, exec, s[4:5]
                                        ; implicit-def: $vgpr1
	s_and_saveexec_b64 s[4:5], s[0:1]
	s_cbranch_execz .LBB12_9
.LBB12_8:
	s_waitcnt vmcnt(0)
	v_cndmask_b32_e64 v1, 0, v7, s[0:1]
	s_or_b64 s[2:3], s[2:3], exec
.LBB12_9:
	s_or_b64 exec, exec, s[4:5]
.LBB12_10:
	s_and_saveexec_b64 s[0:1], s[2:3]
	s_cbranch_execnz .LBB12_12
; %bb.11:
	s_endpgm
.LBB12_12:
	s_add_u32 s0, s8, s10
	s_addc_u32 s1, s9, s11
	s_waitcnt vmcnt(1)
	global_store_dword v2, v1, s[0:1] offset:512
	s_endpgm
.LBB12_13:
	global_load_dword v7, v[4:5], off offset:512
	s_or_b64 exec, exec, s[4:5]
	v_cndmask_b32_e32 v0, 0, v6, vcc
	s_and_saveexec_b64 s[4:5], vcc
	s_cbranch_execz .LBB12_7
.LBB12_14:
	s_add_u32 s6, s8, s10
	s_addc_u32 s7, s9, s11
	global_store_dword v2, v0, s[6:7]
	s_or_b64 exec, exec, s[4:5]
                                        ; implicit-def: $vgpr1
	s_and_saveexec_b64 s[4:5], s[0:1]
	s_cbranch_execnz .LBB12_8
	s_branch .LBB12_9
	.section	.rodata,"a",@progbits
	.p2align	6, 0x0
	.amdhsa_kernel _ZN7rocprim17ROCPRIM_304000_NS6detail16transform_kernelINS1_24wrapped_transform_configINS0_14default_configEiEEiPKiPiNS0_8identityIiEEEEvT1_mT2_T3_
		.amdhsa_group_segment_fixed_size 0
		.amdhsa_private_segment_fixed_size 0
		.amdhsa_kernarg_size 288
		.amdhsa_user_sgpr_count 2
		.amdhsa_user_sgpr_dispatch_ptr 0
		.amdhsa_user_sgpr_queue_ptr 0
		.amdhsa_user_sgpr_kernarg_segment_ptr 1
		.amdhsa_user_sgpr_dispatch_id 0
		.amdhsa_user_sgpr_kernarg_preload_length 0
		.amdhsa_user_sgpr_kernarg_preload_offset 0
		.amdhsa_user_sgpr_private_segment_size 0
		.amdhsa_uses_dynamic_stack 0
		.amdhsa_enable_private_segment 0
		.amdhsa_system_sgpr_workgroup_id_x 1
		.amdhsa_system_sgpr_workgroup_id_y 0
		.amdhsa_system_sgpr_workgroup_id_z 0
		.amdhsa_system_sgpr_workgroup_info 0
		.amdhsa_system_vgpr_workitem_id 0
		.amdhsa_next_free_vgpr 10
		.amdhsa_next_free_sgpr 12
		.amdhsa_accum_offset 12
		.amdhsa_reserve_vcc 1
		.amdhsa_float_round_mode_32 0
		.amdhsa_float_round_mode_16_64 0
		.amdhsa_float_denorm_mode_32 3
		.amdhsa_float_denorm_mode_16_64 3
		.amdhsa_dx10_clamp 1
		.amdhsa_ieee_mode 1
		.amdhsa_fp16_overflow 0
		.amdhsa_tg_split 0
		.amdhsa_exception_fp_ieee_invalid_op 0
		.amdhsa_exception_fp_denorm_src 0
		.amdhsa_exception_fp_ieee_div_zero 0
		.amdhsa_exception_fp_ieee_overflow 0
		.amdhsa_exception_fp_ieee_underflow 0
		.amdhsa_exception_fp_ieee_inexact 0
		.amdhsa_exception_int_div_zero 0
	.end_amdhsa_kernel
	.section	.text._ZN7rocprim17ROCPRIM_304000_NS6detail16transform_kernelINS1_24wrapped_transform_configINS0_14default_configEiEEiPKiPiNS0_8identityIiEEEEvT1_mT2_T3_,"axG",@progbits,_ZN7rocprim17ROCPRIM_304000_NS6detail16transform_kernelINS1_24wrapped_transform_configINS0_14default_configEiEEiPKiPiNS0_8identityIiEEEEvT1_mT2_T3_,comdat
.Lfunc_end12:
	.size	_ZN7rocprim17ROCPRIM_304000_NS6detail16transform_kernelINS1_24wrapped_transform_configINS0_14default_configEiEEiPKiPiNS0_8identityIiEEEEvT1_mT2_T3_, .Lfunc_end12-_ZN7rocprim17ROCPRIM_304000_NS6detail16transform_kernelINS1_24wrapped_transform_configINS0_14default_configEiEEiPKiPiNS0_8identityIiEEEEvT1_mT2_T3_
                                        ; -- End function
	.set _ZN7rocprim17ROCPRIM_304000_NS6detail16transform_kernelINS1_24wrapped_transform_configINS0_14default_configEiEEiPKiPiNS0_8identityIiEEEEvT1_mT2_T3_.num_vgpr, 10
	.set _ZN7rocprim17ROCPRIM_304000_NS6detail16transform_kernelINS1_24wrapped_transform_configINS0_14default_configEiEEiPKiPiNS0_8identityIiEEEEvT1_mT2_T3_.num_agpr, 0
	.set _ZN7rocprim17ROCPRIM_304000_NS6detail16transform_kernelINS1_24wrapped_transform_configINS0_14default_configEiEEiPKiPiNS0_8identityIiEEEEvT1_mT2_T3_.numbered_sgpr, 12
	.set _ZN7rocprim17ROCPRIM_304000_NS6detail16transform_kernelINS1_24wrapped_transform_configINS0_14default_configEiEEiPKiPiNS0_8identityIiEEEEvT1_mT2_T3_.num_named_barrier, 0
	.set _ZN7rocprim17ROCPRIM_304000_NS6detail16transform_kernelINS1_24wrapped_transform_configINS0_14default_configEiEEiPKiPiNS0_8identityIiEEEEvT1_mT2_T3_.private_seg_size, 0
	.set _ZN7rocprim17ROCPRIM_304000_NS6detail16transform_kernelINS1_24wrapped_transform_configINS0_14default_configEiEEiPKiPiNS0_8identityIiEEEEvT1_mT2_T3_.uses_vcc, 1
	.set _ZN7rocprim17ROCPRIM_304000_NS6detail16transform_kernelINS1_24wrapped_transform_configINS0_14default_configEiEEiPKiPiNS0_8identityIiEEEEvT1_mT2_T3_.uses_flat_scratch, 0
	.set _ZN7rocprim17ROCPRIM_304000_NS6detail16transform_kernelINS1_24wrapped_transform_configINS0_14default_configEiEEiPKiPiNS0_8identityIiEEEEvT1_mT2_T3_.has_dyn_sized_stack, 0
	.set _ZN7rocprim17ROCPRIM_304000_NS6detail16transform_kernelINS1_24wrapped_transform_configINS0_14default_configEiEEiPKiPiNS0_8identityIiEEEEvT1_mT2_T3_.has_recursion, 0
	.set _ZN7rocprim17ROCPRIM_304000_NS6detail16transform_kernelINS1_24wrapped_transform_configINS0_14default_configEiEEiPKiPiNS0_8identityIiEEEEvT1_mT2_T3_.has_indirect_call, 0
	.section	.AMDGPU.csdata,"",@progbits
; Kernel info:
; codeLenInByte = 340
; TotalNumSgprs: 18
; NumVgprs: 10
; NumAgprs: 0
; TotalNumVgprs: 10
; ScratchSize: 0
; MemoryBound: 0
; FloatMode: 240
; IeeeMode: 1
; LDSByteSize: 0 bytes/workgroup (compile time only)
; SGPRBlocks: 2
; VGPRBlocks: 1
; NumSGPRsForWavesPerEU: 18
; NumVGPRsForWavesPerEU: 10
; AccumOffset: 12
; Occupancy: 8
; WaveLimiterHint : 1
; COMPUTE_PGM_RSRC2:SCRATCH_EN: 0
; COMPUTE_PGM_RSRC2:USER_SGPR: 2
; COMPUTE_PGM_RSRC2:TRAP_HANDLER: 0
; COMPUTE_PGM_RSRC2:TGID_X_EN: 1
; COMPUTE_PGM_RSRC2:TGID_Y_EN: 0
; COMPUTE_PGM_RSRC2:TGID_Z_EN: 0
; COMPUTE_PGM_RSRC2:TIDIG_COMP_CNT: 0
; COMPUTE_PGM_RSRC3_GFX90A:ACCUM_OFFSET: 2
; COMPUTE_PGM_RSRC3_GFX90A:TG_SPLIT: 0
	.section	.text._ZN7rocprim17ROCPRIM_304000_NS6detail16transform_kernelINS1_24wrapped_transform_configINS0_14default_configEN2at4cuda3cub6detail10OpaqueTypeILi2EEEEESA_PKSA_PSA_NS0_8identityISA_EEEEvT1_mT2_T3_,"axG",@progbits,_ZN7rocprim17ROCPRIM_304000_NS6detail16transform_kernelINS1_24wrapped_transform_configINS0_14default_configEN2at4cuda3cub6detail10OpaqueTypeILi2EEEEESA_PKSA_PSA_NS0_8identityISA_EEEEvT1_mT2_T3_,comdat
	.protected	_ZN7rocprim17ROCPRIM_304000_NS6detail16transform_kernelINS1_24wrapped_transform_configINS0_14default_configEN2at4cuda3cub6detail10OpaqueTypeILi2EEEEESA_PKSA_PSA_NS0_8identityISA_EEEEvT1_mT2_T3_ ; -- Begin function _ZN7rocprim17ROCPRIM_304000_NS6detail16transform_kernelINS1_24wrapped_transform_configINS0_14default_configEN2at4cuda3cub6detail10OpaqueTypeILi2EEEEESA_PKSA_PSA_NS0_8identityISA_EEEEvT1_mT2_T3_
	.globl	_ZN7rocprim17ROCPRIM_304000_NS6detail16transform_kernelINS1_24wrapped_transform_configINS0_14default_configEN2at4cuda3cub6detail10OpaqueTypeILi2EEEEESA_PKSA_PSA_NS0_8identityISA_EEEEvT1_mT2_T3_
	.p2align	8
	.type	_ZN7rocprim17ROCPRIM_304000_NS6detail16transform_kernelINS1_24wrapped_transform_configINS0_14default_configEN2at4cuda3cub6detail10OpaqueTypeILi2EEEEESA_PKSA_PSA_NS0_8identityISA_EEEEvT1_mT2_T3_,@function
_ZN7rocprim17ROCPRIM_304000_NS6detail16transform_kernelINS1_24wrapped_transform_configINS0_14default_configEN2at4cuda3cub6detail10OpaqueTypeILi2EEEEESA_PKSA_PSA_NS0_8identityISA_EEEEvT1_mT2_T3_: ; @_ZN7rocprim17ROCPRIM_304000_NS6detail16transform_kernelINS1_24wrapped_transform_configINS0_14default_configEN2at4cuda3cub6detail10OpaqueTypeILi2EEEEESA_PKSA_PSA_NS0_8identityISA_EEEEvT1_mT2_T3_
; %bb.0:
	s_load_dword s3, s[0:1], 0x20
	s_load_dwordx4 s[4:7], s[0:1], 0x0
	s_load_dwordx2 s[8:9], s[0:1], 0x10
	s_lshl_b32 s0, s2, 9
	s_mov_b32 s1, 0
	s_waitcnt lgkmcnt(0)
	s_add_i32 s3, s3, -1
	s_lshl_b64 s[10:11], s[0:1], 1
	s_add_u32 s4, s4, s10
	s_addc_u32 s5, s5, s11
	v_mov_b32_e32 v3, 0
	v_lshlrev_b32_e32 v2, 1, v0
	s_cmp_lg_u32 s2, s3
	v_lshl_add_u64 v[4:5], s[4:5], 0, v[2:3]
	s_cbranch_scc0 .LBB13_2
; %bb.1:
	global_load_ushort v1, v[4:5], off
	global_load_ushort v3, v[4:5], off offset:256
	global_load_ushort v7, v[4:5], off offset:512
	;; [unrolled: 1-line block ×3, first 2 shown]
	s_add_u32 s4, s8, s10
	s_addc_u32 s5, s9, s11
	s_waitcnt vmcnt(3)
	global_store_short v2, v1, s[4:5]
	s_waitcnt vmcnt(3)
	global_store_short v2, v3, s[4:5] offset:256
	s_waitcnt vmcnt(3)
	global_store_short v2, v7, s[4:5] offset:512
	s_mov_b64 s[4:5], -1
	s_cbranch_execz .LBB13_3
	s_branch .LBB13_16
.LBB13_2:
	s_mov_b64 s[4:5], 0
                                        ; implicit-def: $vgpr6
.LBB13_3:
	s_sub_i32 s6, s6, s0
	v_cmp_gt_u32_e32 vcc, s6, v0
                                        ; implicit-def: $vgpr7
	s_and_saveexec_b64 s[0:1], vcc
	s_cbranch_execz .LBB13_5
; %bb.4:
	global_load_ushort v7, v[4:5], off
.LBB13_5:
	s_or_b64 exec, exec, s[0:1]
	v_or_b32_e32 v1, 0x80, v0
	v_cmp_gt_u32_e64 s[0:1], s6, v1
                                        ; implicit-def: $vgpr8
	s_and_saveexec_b64 s[2:3], s[0:1]
	s_cbranch_execz .LBB13_7
; %bb.6:
	global_load_ushort v8, v[4:5], off offset:256
.LBB13_7:
	s_or_b64 exec, exec, s[2:3]
	v_or_b32_e32 v1, 0x100, v0
	v_cmp_gt_u32_e64 s[2:3], s6, v1
                                        ; implicit-def: $vgpr9
	s_and_saveexec_b64 s[4:5], s[2:3]
	s_cbranch_execz .LBB13_9
; %bb.8:
	global_load_ushort v9, v[4:5], off offset:512
.LBB13_9:
	s_or_b64 exec, exec, s[4:5]
	v_or_b32_e32 v0, 0x180, v0
	v_cmp_gt_u32_e64 s[4:5], s6, v0
                                        ; implicit-def: $vgpr6
	s_and_saveexec_b64 s[6:7], s[4:5]
	s_cbranch_execz .LBB13_11
; %bb.10:
	global_load_ushort v6, v[4:5], off offset:768
.LBB13_11:
	s_or_b64 exec, exec, s[6:7]
	s_add_u32 s6, s8, s10
	s_addc_u32 s7, s9, s11
	v_mov_b32_e32 v3, 0
	v_lshl_add_u64 v[0:1], s[6:7], 0, v[2:3]
	s_and_saveexec_b64 s[6:7], vcc
	s_cbranch_execnz .LBB13_19
; %bb.12:
	s_or_b64 exec, exec, s[6:7]
	s_and_saveexec_b64 s[6:7], s[0:1]
	s_cbranch_execnz .LBB13_20
.LBB13_13:
	s_or_b64 exec, exec, s[6:7]
	s_and_saveexec_b64 s[0:1], s[2:3]
	s_cbranch_execz .LBB13_15
.LBB13_14:
	s_waitcnt vmcnt(0)
	global_store_short v[0:1], v9, off offset:512
.LBB13_15:
	s_or_b64 exec, exec, s[0:1]
.LBB13_16:
	s_and_saveexec_b64 s[0:1], s[4:5]
	s_cbranch_execnz .LBB13_18
; %bb.17:
	s_endpgm
.LBB13_18:
	s_add_u32 s0, s8, s10
	s_addc_u32 s1, s9, s11
	s_waitcnt vmcnt(0)
	global_store_short v2, v6, s[0:1] offset:768
	s_endpgm
.LBB13_19:
	s_waitcnt vmcnt(0)
	global_store_short v[0:1], v7, off
	s_or_b64 exec, exec, s[6:7]
	s_and_saveexec_b64 s[6:7], s[0:1]
	s_cbranch_execz .LBB13_13
.LBB13_20:
	s_waitcnt vmcnt(0)
	global_store_short v[0:1], v8, off offset:256
	s_or_b64 exec, exec, s[6:7]
	s_and_saveexec_b64 s[0:1], s[2:3]
	s_cbranch_execnz .LBB13_14
	s_branch .LBB13_15
	.section	.rodata,"a",@progbits
	.p2align	6, 0x0
	.amdhsa_kernel _ZN7rocprim17ROCPRIM_304000_NS6detail16transform_kernelINS1_24wrapped_transform_configINS0_14default_configEN2at4cuda3cub6detail10OpaqueTypeILi2EEEEESA_PKSA_PSA_NS0_8identityISA_EEEEvT1_mT2_T3_
		.amdhsa_group_segment_fixed_size 0
		.amdhsa_private_segment_fixed_size 0
		.amdhsa_kernarg_size 288
		.amdhsa_user_sgpr_count 2
		.amdhsa_user_sgpr_dispatch_ptr 0
		.amdhsa_user_sgpr_queue_ptr 0
		.amdhsa_user_sgpr_kernarg_segment_ptr 1
		.amdhsa_user_sgpr_dispatch_id 0
		.amdhsa_user_sgpr_kernarg_preload_length 0
		.amdhsa_user_sgpr_kernarg_preload_offset 0
		.amdhsa_user_sgpr_private_segment_size 0
		.amdhsa_uses_dynamic_stack 0
		.amdhsa_enable_private_segment 0
		.amdhsa_system_sgpr_workgroup_id_x 1
		.amdhsa_system_sgpr_workgroup_id_y 0
		.amdhsa_system_sgpr_workgroup_id_z 0
		.amdhsa_system_sgpr_workgroup_info 0
		.amdhsa_system_vgpr_workitem_id 0
		.amdhsa_next_free_vgpr 10
		.amdhsa_next_free_sgpr 12
		.amdhsa_accum_offset 12
		.amdhsa_reserve_vcc 1
		.amdhsa_float_round_mode_32 0
		.amdhsa_float_round_mode_16_64 0
		.amdhsa_float_denorm_mode_32 3
		.amdhsa_float_denorm_mode_16_64 3
		.amdhsa_dx10_clamp 1
		.amdhsa_ieee_mode 1
		.amdhsa_fp16_overflow 0
		.amdhsa_tg_split 0
		.amdhsa_exception_fp_ieee_invalid_op 0
		.amdhsa_exception_fp_denorm_src 0
		.amdhsa_exception_fp_ieee_div_zero 0
		.amdhsa_exception_fp_ieee_overflow 0
		.amdhsa_exception_fp_ieee_underflow 0
		.amdhsa_exception_fp_ieee_inexact 0
		.amdhsa_exception_int_div_zero 0
	.end_amdhsa_kernel
	.section	.text._ZN7rocprim17ROCPRIM_304000_NS6detail16transform_kernelINS1_24wrapped_transform_configINS0_14default_configEN2at4cuda3cub6detail10OpaqueTypeILi2EEEEESA_PKSA_PSA_NS0_8identityISA_EEEEvT1_mT2_T3_,"axG",@progbits,_ZN7rocprim17ROCPRIM_304000_NS6detail16transform_kernelINS1_24wrapped_transform_configINS0_14default_configEN2at4cuda3cub6detail10OpaqueTypeILi2EEEEESA_PKSA_PSA_NS0_8identityISA_EEEEvT1_mT2_T3_,comdat
.Lfunc_end13:
	.size	_ZN7rocprim17ROCPRIM_304000_NS6detail16transform_kernelINS1_24wrapped_transform_configINS0_14default_configEN2at4cuda3cub6detail10OpaqueTypeILi2EEEEESA_PKSA_PSA_NS0_8identityISA_EEEEvT1_mT2_T3_, .Lfunc_end13-_ZN7rocprim17ROCPRIM_304000_NS6detail16transform_kernelINS1_24wrapped_transform_configINS0_14default_configEN2at4cuda3cub6detail10OpaqueTypeILi2EEEEESA_PKSA_PSA_NS0_8identityISA_EEEEvT1_mT2_T3_
                                        ; -- End function
	.set _ZN7rocprim17ROCPRIM_304000_NS6detail16transform_kernelINS1_24wrapped_transform_configINS0_14default_configEN2at4cuda3cub6detail10OpaqueTypeILi2EEEEESA_PKSA_PSA_NS0_8identityISA_EEEEvT1_mT2_T3_.num_vgpr, 10
	.set _ZN7rocprim17ROCPRIM_304000_NS6detail16transform_kernelINS1_24wrapped_transform_configINS0_14default_configEN2at4cuda3cub6detail10OpaqueTypeILi2EEEEESA_PKSA_PSA_NS0_8identityISA_EEEEvT1_mT2_T3_.num_agpr, 0
	.set _ZN7rocprim17ROCPRIM_304000_NS6detail16transform_kernelINS1_24wrapped_transform_configINS0_14default_configEN2at4cuda3cub6detail10OpaqueTypeILi2EEEEESA_PKSA_PSA_NS0_8identityISA_EEEEvT1_mT2_T3_.numbered_sgpr, 12
	.set _ZN7rocprim17ROCPRIM_304000_NS6detail16transform_kernelINS1_24wrapped_transform_configINS0_14default_configEN2at4cuda3cub6detail10OpaqueTypeILi2EEEEESA_PKSA_PSA_NS0_8identityISA_EEEEvT1_mT2_T3_.num_named_barrier, 0
	.set _ZN7rocprim17ROCPRIM_304000_NS6detail16transform_kernelINS1_24wrapped_transform_configINS0_14default_configEN2at4cuda3cub6detail10OpaqueTypeILi2EEEEESA_PKSA_PSA_NS0_8identityISA_EEEEvT1_mT2_T3_.private_seg_size, 0
	.set _ZN7rocprim17ROCPRIM_304000_NS6detail16transform_kernelINS1_24wrapped_transform_configINS0_14default_configEN2at4cuda3cub6detail10OpaqueTypeILi2EEEEESA_PKSA_PSA_NS0_8identityISA_EEEEvT1_mT2_T3_.uses_vcc, 1
	.set _ZN7rocprim17ROCPRIM_304000_NS6detail16transform_kernelINS1_24wrapped_transform_configINS0_14default_configEN2at4cuda3cub6detail10OpaqueTypeILi2EEEEESA_PKSA_PSA_NS0_8identityISA_EEEEvT1_mT2_T3_.uses_flat_scratch, 0
	.set _ZN7rocprim17ROCPRIM_304000_NS6detail16transform_kernelINS1_24wrapped_transform_configINS0_14default_configEN2at4cuda3cub6detail10OpaqueTypeILi2EEEEESA_PKSA_PSA_NS0_8identityISA_EEEEvT1_mT2_T3_.has_dyn_sized_stack, 0
	.set _ZN7rocprim17ROCPRIM_304000_NS6detail16transform_kernelINS1_24wrapped_transform_configINS0_14default_configEN2at4cuda3cub6detail10OpaqueTypeILi2EEEEESA_PKSA_PSA_NS0_8identityISA_EEEEvT1_mT2_T3_.has_recursion, 0
	.set _ZN7rocprim17ROCPRIM_304000_NS6detail16transform_kernelINS1_24wrapped_transform_configINS0_14default_configEN2at4cuda3cub6detail10OpaqueTypeILi2EEEEESA_PKSA_PSA_NS0_8identityISA_EEEEvT1_mT2_T3_.has_indirect_call, 0
	.section	.AMDGPU.csdata,"",@progbits
; Kernel info:
; codeLenInByte = 460
; TotalNumSgprs: 18
; NumVgprs: 10
; NumAgprs: 0
; TotalNumVgprs: 10
; ScratchSize: 0
; MemoryBound: 0
; FloatMode: 240
; IeeeMode: 1
; LDSByteSize: 0 bytes/workgroup (compile time only)
; SGPRBlocks: 2
; VGPRBlocks: 1
; NumSGPRsForWavesPerEU: 18
; NumVGPRsForWavesPerEU: 10
; AccumOffset: 12
; Occupancy: 8
; WaveLimiterHint : 1
; COMPUTE_PGM_RSRC2:SCRATCH_EN: 0
; COMPUTE_PGM_RSRC2:USER_SGPR: 2
; COMPUTE_PGM_RSRC2:TRAP_HANDLER: 0
; COMPUTE_PGM_RSRC2:TGID_X_EN: 1
; COMPUTE_PGM_RSRC2:TGID_Y_EN: 0
; COMPUTE_PGM_RSRC2:TGID_Z_EN: 0
; COMPUTE_PGM_RSRC2:TIDIG_COMP_CNT: 0
; COMPUTE_PGM_RSRC3_GFX90A:ACCUM_OFFSET: 2
; COMPUTE_PGM_RSRC3_GFX90A:TG_SPLIT: 0
	.section	.text._ZN7rocprim17ROCPRIM_304000_NS6detail25onesweep_iteration_kernelINS1_34wrapped_radix_sort_onesweep_configINS0_14default_configEiN2at4cuda3cub6detail10OpaqueTypeILi2EEEEELb1EPKiPiPKSA_PSA_mNS0_19identity_decomposerEEEvT1_T2_T3_T4_jPT5_SO_PNS1_23onesweep_lookback_stateET6_jjj,"axG",@progbits,_ZN7rocprim17ROCPRIM_304000_NS6detail25onesweep_iteration_kernelINS1_34wrapped_radix_sort_onesweep_configINS0_14default_configEiN2at4cuda3cub6detail10OpaqueTypeILi2EEEEELb1EPKiPiPKSA_PSA_mNS0_19identity_decomposerEEEvT1_T2_T3_T4_jPT5_SO_PNS1_23onesweep_lookback_stateET6_jjj,comdat
	.protected	_ZN7rocprim17ROCPRIM_304000_NS6detail25onesweep_iteration_kernelINS1_34wrapped_radix_sort_onesweep_configINS0_14default_configEiN2at4cuda3cub6detail10OpaqueTypeILi2EEEEELb1EPKiPiPKSA_PSA_mNS0_19identity_decomposerEEEvT1_T2_T3_T4_jPT5_SO_PNS1_23onesweep_lookback_stateET6_jjj ; -- Begin function _ZN7rocprim17ROCPRIM_304000_NS6detail25onesweep_iteration_kernelINS1_34wrapped_radix_sort_onesweep_configINS0_14default_configEiN2at4cuda3cub6detail10OpaqueTypeILi2EEEEELb1EPKiPiPKSA_PSA_mNS0_19identity_decomposerEEEvT1_T2_T3_T4_jPT5_SO_PNS1_23onesweep_lookback_stateET6_jjj
	.globl	_ZN7rocprim17ROCPRIM_304000_NS6detail25onesweep_iteration_kernelINS1_34wrapped_radix_sort_onesweep_configINS0_14default_configEiN2at4cuda3cub6detail10OpaqueTypeILi2EEEEELb1EPKiPiPKSA_PSA_mNS0_19identity_decomposerEEEvT1_T2_T3_T4_jPT5_SO_PNS1_23onesweep_lookback_stateET6_jjj
	.p2align	8
	.type	_ZN7rocprim17ROCPRIM_304000_NS6detail25onesweep_iteration_kernelINS1_34wrapped_radix_sort_onesweep_configINS0_14default_configEiN2at4cuda3cub6detail10OpaqueTypeILi2EEEEELb1EPKiPiPKSA_PSA_mNS0_19identity_decomposerEEEvT1_T2_T3_T4_jPT5_SO_PNS1_23onesweep_lookback_stateET6_jjj,@function
_ZN7rocprim17ROCPRIM_304000_NS6detail25onesweep_iteration_kernelINS1_34wrapped_radix_sort_onesweep_configINS0_14default_configEiN2at4cuda3cub6detail10OpaqueTypeILi2EEEEELb1EPKiPiPKSA_PSA_mNS0_19identity_decomposerEEEvT1_T2_T3_T4_jPT5_SO_PNS1_23onesweep_lookback_stateET6_jjj: ; @_ZN7rocprim17ROCPRIM_304000_NS6detail25onesweep_iteration_kernelINS1_34wrapped_radix_sort_onesweep_configINS0_14default_configEiN2at4cuda3cub6detail10OpaqueTypeILi2EEEEELb1EPKiPiPKSA_PSA_mNS0_19identity_decomposerEEEvT1_T2_T3_T4_jPT5_SO_PNS1_23onesweep_lookback_stateET6_jjj
; %bb.0:
	s_load_dwordx8 s[68:75], s[0:1], 0x0
	s_load_dwordx4 s[80:83], s[0:1], 0x44
	s_load_dwordx4 s[76:79], s[0:1], 0x28
	s_load_dwordx2 s[84:85], s[0:1], 0x38
	s_mov_b32 s3, s2
	s_mov_b64 s[4:5], -1
	s_waitcnt lgkmcnt(0)
	s_cmp_ge_u32 s2, s82
	v_mbcnt_lo_u32_b32 v1, -1, 0
	s_cbranch_scc0 .LBB14_196
; %bb.1:
	s_load_dword s4, s[0:1], 0x20
	s_lshl_b32 s5, s82, 12
	s_lshl_b32 s82, s2, 12
	s_mov_b32 s83, 0
	v_and_b32_e32 v2, 0x3ff, v0
	s_waitcnt lgkmcnt(0)
	s_sub_i32 s86, s4, s5
	s_lshl_b64 s[4:5], s[82:83], 2
	s_add_u32 s4, s68, s4
	v_mbcnt_hi_u32_b32 v14, -1, v1
	v_lshlrev_b32_e32 v3, 4, v2
	s_addc_u32 s5, s69, s5
	v_and_b32_e32 v3, 0xc00, v3
	v_mov_b32_e32 v5, 0
	v_lshlrev_b32_e32 v4, 2, v14
	v_lshl_add_u64 v[6:7], s[4:5], 0, v[4:5]
	v_lshlrev_b32_e32 v4, 2, v3
	v_lshl_add_u64 v[4:5], v[6:7], 0, v[4:5]
	v_or_b32_e32 v6, v14, v3
	v_mov_b32_e32 v8, -1
	v_cmp_gt_u32_e32 vcc, s86, v6
	v_mov_b32_e32 v9, -1
	s_and_saveexec_b64 s[4:5], vcc
	s_cbranch_execz .LBB14_3
; %bb.2:
	global_load_dword v7, v[4:5], off
	s_waitcnt vmcnt(0)
	v_xor_b32_e32 v9, 0x7fffffff, v7
.LBB14_3:
	s_or_b64 exec, exec, s[4:5]
	v_add_u32_e32 v7, 64, v6
	v_cmp_gt_u32_e64 s[66:67], s86, v7
	s_and_saveexec_b64 s[4:5], s[66:67]
	s_cbranch_execz .LBB14_5
; %bb.4:
	global_load_dword v7, v[4:5], off offset:256
	s_waitcnt vmcnt(0)
	v_xor_b32_e32 v8, 0x7fffffff, v7
.LBB14_5:
	s_or_b64 exec, exec, s[4:5]
	v_add_u32_e32 v7, 0x80, v6
	v_cmp_gt_u32_e64 s[4:5], s86, v7
	v_mov_b32_e32 v10, -1
	v_mov_b32_e32 v11, -1
	s_and_saveexec_b64 s[6:7], s[4:5]
	s_cbranch_execz .LBB14_7
; %bb.6:
	global_load_dword v7, v[4:5], off offset:512
	s_waitcnt vmcnt(0)
	v_xor_b32_e32 v11, 0x7fffffff, v7
.LBB14_7:
	s_or_b64 exec, exec, s[6:7]
	v_add_u32_e32 v7, 0xc0, v6
	v_cmp_gt_u32_e64 s[6:7], s86, v7
	s_and_saveexec_b64 s[8:9], s[6:7]
	s_cbranch_execz .LBB14_9
; %bb.8:
	global_load_dword v7, v[4:5], off offset:768
	s_waitcnt vmcnt(0)
	v_xor_b32_e32 v10, 0x7fffffff, v7
.LBB14_9:
	s_or_b64 exec, exec, s[8:9]
	v_add_u32_e32 v7, 0x100, v6
	v_cmp_gt_u32_e64 s[8:9], s86, v7
	v_mov_b32_e32 v12, -1
	v_mov_b32_e32 v13, -1
	s_and_saveexec_b64 s[10:11], s[8:9]
	s_cbranch_execz .LBB14_11
; %bb.10:
	global_load_dword v7, v[4:5], off offset:1024
	s_waitcnt vmcnt(0)
	v_xor_b32_e32 v13, 0x7fffffff, v7
.LBB14_11:
	;; [unrolled: 22-line block ×7, first 2 shown]
	s_or_b64 exec, exec, s[30:31]
	v_add_u32_e32 v6, 0x3c0, v6
	v_cmp_gt_u32_e64 s[30:31], s86, v6
	s_and_saveexec_b64 s[34:35], s[30:31]
	s_cbranch_execz .LBB14_33
; %bb.32:
	global_load_dword v4, v[4:5], off offset:3840
	s_waitcnt vmcnt(0)
	v_xor_b32_e32 v23, 0x7fffffff, v4
.LBB14_33:
	s_or_b64 exec, exec, s[34:35]
	s_load_dword s34, s[0:1], 0x5c
	s_load_dword s33, s[0:1], 0x50
	s_add_u32 s35, s0, 0x50
	s_addc_u32 s36, s1, 0
	v_mov_b32_e32 v5, 0
	s_waitcnt lgkmcnt(0)
	s_lshr_b32 s37, s34, 16
	s_cmp_lt_u32 s2, s33
	s_cselect_b32 s34, 12, 18
	s_add_u32 s34, s35, s34
	s_addc_u32 s35, s36, 0
	global_load_ushort v40, v5, s[34:35]
	v_lshrrev_b32_e32 v27, s80, v9
	s_lshl_b32 s34, -1, s81
	v_bfe_u32 v4, v0, 10, 10
	v_bfe_u32 v7, v0, 20, 10
	v_bitop3_b32 v37, v27, s34, v27 bitop3:0x30
	v_mad_u32_u24 v41, v7, s37, v4
	v_and_b32_e32 v4, 1, v37
	v_lshlrev_b32_e32 v7, 30, v37
	v_mov_b32_e32 v6, v5
	v_mov_b32_e32 v28, v5
	s_not_b32 s88, s34
	v_lshlrev_b32_e32 v27, 29, v37
	v_lshlrev_b32_e32 v29, 28, v37
	v_lshl_add_u64 v[38:39], v[4:5], 0, -1
	v_cmp_ne_u32_e64 s[34:35], 0, v4
	v_not_b32_e32 v4, v7
	v_mov_b32_e32 v26, v5
	v_mov_b32_e32 v30, v5
	v_lshlrev_b32_e32 v31, 27, v37
	v_cmp_gt_i64_e64 s[36:37], 0, v[6:7]
	v_not_b32_e32 v6, v27
	v_cmp_gt_i64_e64 s[40:41], 0, v[28:29]
	v_not_b32_e32 v7, v29
	v_xor_b32_e32 v29, s35, v39
	v_ashrrev_i32_e32 v4, 31, v4
	v_mov_b32_e32 v32, v5
	v_lshlrev_b32_e32 v33, 26, v37
	v_cmp_gt_i64_e64 s[38:39], 0, v[26:27]
	v_cmp_gt_i64_e64 s[42:43], 0, v[30:31]
	v_not_b32_e32 v26, v31
	v_xor_b32_e32 v30, s34, v38
	v_ashrrev_i32_e32 v6, 31, v6
	v_and_b32_e32 v29, exec_hi, v29
	v_xor_b32_e32 v31, s37, v4
	v_cmp_gt_i64_e64 s[44:45], 0, v[32:33]
	v_ashrrev_i32_e32 v7, 31, v7
	v_and_b32_e32 v30, exec_lo, v30
	v_xor_b32_e32 v4, s36, v4
	v_xor_b32_e32 v32, s39, v6
	v_and_b32_e32 v29, v29, v31
	v_mov_b32_e32 v34, v5
	v_lshlrev_b32_e32 v35, 25, v37
	v_not_b32_e32 v27, v33
	v_ashrrev_i32_e32 v26, 31, v26
	v_xor_b32_e32 v6, s38, v6
	v_xor_b32_e32 v33, s41, v7
	v_and_b32_e32 v4, v30, v4
	v_and_b32_e32 v29, v29, v32
	v_cmp_gt_i64_e64 s[46:47], 0, v[34:35]
	v_not_b32_e32 v28, v35
	v_ashrrev_i32_e32 v27, 31, v27
	v_xor_b32_e32 v34, s43, v26
	v_and_b32_e32 v4, v4, v6
	v_and_b32_e32 v6, v29, v33
	v_ashrrev_i32_e32 v28, 31, v28
	v_xor_b32_e32 v7, s40, v7
	v_xor_b32_e32 v35, s45, v27
	v_and_b32_e32 v6, v6, v34
	v_xor_b32_e32 v26, s42, v26
	v_xor_b32_e32 v38, s47, v28
	v_and_b32_e32 v4, v4, v7
	v_and_b32_e32 v6, v6, v35
	v_mul_lo_u32 v42, v37, 20
	v_lshlrev_b32_e32 v37, 24, v37
	v_and_b32_e32 v4, v4, v26
	v_and_b32_e32 v26, v6, v38
	v_mov_b32_e32 v36, v5
	v_xor_b32_e32 v27, s44, v27
	v_xor_b32_e32 v28, s46, v28
	v_and_b32_e32 v4, v4, v27
	v_and_b32_e32 v4, v4, v28
	v_mul_u32_u24_e32 v25, 20, v2
	ds_write2_b32 v25, v5, v5 offset0:4 offset1:5
	ds_write2_b32 v25, v5, v5 offset0:6 offset1:7
	ds_write_b32 v25, v5 offset:32
	s_waitcnt lgkmcnt(0)
	s_barrier
	s_waitcnt vmcnt(0)
	; wave barrier
	v_mad_u64_u32 v[6:7], s[34:35], v41, v40, v[2:3]
	v_lshrrev_b32_e32 v35, 6, v6
	v_not_b32_e32 v6, v37
	v_cmp_gt_i64_e64 s[34:35], 0, v[36:37]
	v_ashrrev_i32_e32 v6, 31, v6
	v_lshl_add_u32 v27, v35, 2, v42
	v_xor_b32_e32 v7, s35, v6
	v_xor_b32_e32 v6, s34, v6
	v_and_b32_e32 v6, v4, v6
	v_and_b32_e32 v7, v26, v7
	v_mbcnt_lo_u32_b32 v4, v6, 0
	v_mbcnt_hi_u32_b32 v26, v7, v4
	v_cmp_eq_u32_e64 s[34:35], 0, v26
	v_cmp_ne_u64_e64 s[36:37], 0, v[6:7]
	s_and_b64 s[36:37], s[36:37], s[34:35]
	s_and_saveexec_b64 s[34:35], s[36:37]
; %bb.34:
	v_bcnt_u32_b32 v4, v6, 0
	v_bcnt_u32_b32 v4, v7, v4
	ds_write_b32 v27, v4 offset:16
; %bb.35:
	s_or_b64 exec, exec, s[34:35]
	v_lshrrev_b32_e32 v4, s80, v8
	v_and_b32_e32 v30, s88, v4
	v_mul_lo_u32 v4, v30, 20
	v_lshl_add_u32 v29, v35, 2, v4
	v_and_b32_e32 v4, 1, v30
	v_lshl_add_u64 v[6:7], v[4:5], 0, -1
	v_cmp_ne_u32_e64 s[34:35], 0, v4
	; wave barrier
	s_nop 1
	v_xor_b32_e32 v6, s34, v6
	v_xor_b32_e32 v4, s35, v7
	v_and_b32_e32 v31, exec_lo, v6
	v_lshlrev_b32_e32 v7, 30, v30
	v_mov_b32_e32 v6, v5
	v_cmp_gt_i64_e64 s[34:35], 0, v[6:7]
	v_not_b32_e32 v6, v7
	v_ashrrev_i32_e32 v6, 31, v6
	v_and_b32_e32 v4, exec_hi, v4
	v_xor_b32_e32 v7, s35, v6
	v_xor_b32_e32 v6, s34, v6
	v_and_b32_e32 v4, v4, v7
	v_and_b32_e32 v31, v31, v6
	v_lshlrev_b32_e32 v7, 29, v30
	v_mov_b32_e32 v6, v5
	v_cmp_gt_i64_e64 s[34:35], 0, v[6:7]
	v_not_b32_e32 v6, v7
	v_ashrrev_i32_e32 v6, 31, v6
	v_xor_b32_e32 v7, s35, v6
	v_xor_b32_e32 v6, s34, v6
	v_and_b32_e32 v4, v4, v7
	v_and_b32_e32 v31, v31, v6
	v_lshlrev_b32_e32 v7, 28, v30
	v_mov_b32_e32 v6, v5
	v_cmp_gt_i64_e64 s[34:35], 0, v[6:7]
	v_not_b32_e32 v6, v7
	v_ashrrev_i32_e32 v6, 31, v6
	;; [unrolled: 9-line block ×5, first 2 shown]
	v_xor_b32_e32 v7, s35, v6
	v_xor_b32_e32 v6, s34, v6
	v_and_b32_e32 v4, v4, v7
	v_lshlrev_b32_e32 v7, 24, v30
	v_and_b32_e32 v31, v31, v6
	v_mov_b32_e32 v6, v5
	v_not_b32_e32 v5, v7
	v_cmp_gt_i64_e64 s[34:35], 0, v[6:7]
	v_ashrrev_i32_e32 v5, 31, v5
	ds_read_b32 v28, v29 offset:16
	v_xor_b32_e32 v6, s35, v5
	v_xor_b32_e32 v7, s34, v5
	v_and_b32_e32 v5, v4, v6
	v_and_b32_e32 v4, v31, v7
	v_mbcnt_lo_u32_b32 v6, v4, 0
	v_mbcnt_hi_u32_b32 v30, v5, v6
	v_cmp_eq_u32_e64 s[34:35], 0, v30
	v_cmp_ne_u64_e64 s[36:37], 0, v[4:5]
	s_and_b64 s[36:37], s[36:37], s[34:35]
	; wave barrier
	s_and_saveexec_b64 s[34:35], s[36:37]
	s_cbranch_execz .LBB14_37
; %bb.36:
	v_bcnt_u32_b32 v4, v4, 0
	v_bcnt_u32_b32 v4, v5, v4
	s_waitcnt lgkmcnt(0)
	v_add_u32_e32 v4, v28, v4
	ds_write_b32 v29, v4 offset:16
.LBB14_37:
	s_or_b64 exec, exec, s[34:35]
	v_lshrrev_b32_e32 v4, s80, v11
	v_and_b32_e32 v33, s88, v4
	v_mul_lo_u32 v4, v33, 20
	v_lshl_add_u32 v32, v35, 2, v4
	v_and_b32_e32 v4, 1, v33
	v_mov_b32_e32 v5, 0
	v_lshl_add_u64 v[6:7], v[4:5], 0, -1
	v_cmp_ne_u32_e64 s[34:35], 0, v4
	; wave barrier
	s_nop 1
	v_xor_b32_e32 v6, s34, v6
	v_xor_b32_e32 v4, s35, v7
	v_and_b32_e32 v34, exec_lo, v6
	v_lshlrev_b32_e32 v7, 30, v33
	v_mov_b32_e32 v6, v5
	v_cmp_gt_i64_e64 s[34:35], 0, v[6:7]
	v_not_b32_e32 v6, v7
	v_ashrrev_i32_e32 v6, 31, v6
	v_and_b32_e32 v4, exec_hi, v4
	v_xor_b32_e32 v7, s35, v6
	v_xor_b32_e32 v6, s34, v6
	v_and_b32_e32 v4, v4, v7
	v_and_b32_e32 v34, v34, v6
	v_lshlrev_b32_e32 v7, 29, v33
	v_mov_b32_e32 v6, v5
	v_cmp_gt_i64_e64 s[34:35], 0, v[6:7]
	v_not_b32_e32 v6, v7
	v_ashrrev_i32_e32 v6, 31, v6
	v_xor_b32_e32 v7, s35, v6
	v_xor_b32_e32 v6, s34, v6
	v_and_b32_e32 v4, v4, v7
	v_and_b32_e32 v34, v34, v6
	v_lshlrev_b32_e32 v7, 28, v33
	v_mov_b32_e32 v6, v5
	v_cmp_gt_i64_e64 s[34:35], 0, v[6:7]
	v_not_b32_e32 v6, v7
	v_ashrrev_i32_e32 v6, 31, v6
	;; [unrolled: 9-line block ×6, first 2 shown]
	v_xor_b32_e32 v7, s35, v6
	v_xor_b32_e32 v6, s34, v6
	ds_read_b32 v31, v32 offset:16
	v_and_b32_e32 v6, v34, v6
	v_and_b32_e32 v7, v4, v7
	v_mbcnt_lo_u32_b32 v4, v6, 0
	v_mbcnt_hi_u32_b32 v33, v7, v4
	v_cmp_eq_u32_e64 s[34:35], 0, v33
	v_cmp_ne_u64_e64 s[36:37], 0, v[6:7]
	s_and_b64 s[36:37], s[36:37], s[34:35]
	; wave barrier
	s_and_saveexec_b64 s[34:35], s[36:37]
	s_cbranch_execz .LBB14_39
; %bb.38:
	v_bcnt_u32_b32 v4, v6, 0
	v_bcnt_u32_b32 v4, v7, v4
	s_waitcnt lgkmcnt(0)
	v_add_u32_e32 v4, v31, v4
	ds_write_b32 v32, v4 offset:16
.LBB14_39:
	s_or_b64 exec, exec, s[34:35]
	v_lshrrev_b32_e32 v4, s80, v10
	v_and_b32_e32 v37, s88, v4
	v_mul_lo_u32 v4, v37, 20
	v_lshl_add_u32 v36, v35, 2, v4
	v_and_b32_e32 v4, 1, v37
	v_lshl_add_u64 v[6:7], v[4:5], 0, -1
	v_cmp_ne_u32_e64 s[34:35], 0, v4
	; wave barrier
	s_nop 1
	v_xor_b32_e32 v6, s34, v6
	v_xor_b32_e32 v4, s35, v7
	v_and_b32_e32 v38, exec_lo, v6
	v_lshlrev_b32_e32 v7, 30, v37
	v_mov_b32_e32 v6, v5
	v_cmp_gt_i64_e64 s[34:35], 0, v[6:7]
	v_not_b32_e32 v6, v7
	v_ashrrev_i32_e32 v6, 31, v6
	v_and_b32_e32 v4, exec_hi, v4
	v_xor_b32_e32 v7, s35, v6
	v_xor_b32_e32 v6, s34, v6
	v_and_b32_e32 v4, v4, v7
	v_and_b32_e32 v38, v38, v6
	v_lshlrev_b32_e32 v7, 29, v37
	v_mov_b32_e32 v6, v5
	v_cmp_gt_i64_e64 s[34:35], 0, v[6:7]
	v_not_b32_e32 v6, v7
	v_ashrrev_i32_e32 v6, 31, v6
	v_xor_b32_e32 v7, s35, v6
	v_xor_b32_e32 v6, s34, v6
	v_and_b32_e32 v4, v4, v7
	v_and_b32_e32 v38, v38, v6
	v_lshlrev_b32_e32 v7, 28, v37
	v_mov_b32_e32 v6, v5
	v_cmp_gt_i64_e64 s[34:35], 0, v[6:7]
	v_not_b32_e32 v6, v7
	v_ashrrev_i32_e32 v6, 31, v6
	;; [unrolled: 9-line block ×5, first 2 shown]
	v_xor_b32_e32 v7, s35, v6
	v_xor_b32_e32 v6, s34, v6
	v_and_b32_e32 v4, v4, v7
	v_lshlrev_b32_e32 v7, 24, v37
	v_and_b32_e32 v38, v38, v6
	v_mov_b32_e32 v6, v5
	v_not_b32_e32 v5, v7
	v_cmp_gt_i64_e64 s[34:35], 0, v[6:7]
	v_ashrrev_i32_e32 v5, 31, v5
	ds_read_b32 v34, v36 offset:16
	v_xor_b32_e32 v6, s35, v5
	v_xor_b32_e32 v7, s34, v5
	v_and_b32_e32 v5, v4, v6
	v_and_b32_e32 v4, v38, v7
	v_mbcnt_lo_u32_b32 v6, v4, 0
	v_mbcnt_hi_u32_b32 v37, v5, v6
	v_cmp_eq_u32_e64 s[34:35], 0, v37
	v_cmp_ne_u64_e64 s[36:37], 0, v[4:5]
	s_and_b64 s[36:37], s[36:37], s[34:35]
	; wave barrier
	s_and_saveexec_b64 s[34:35], s[36:37]
	s_cbranch_execz .LBB14_41
; %bb.40:
	v_bcnt_u32_b32 v4, v4, 0
	v_bcnt_u32_b32 v4, v5, v4
	s_waitcnt lgkmcnt(0)
	v_add_u32_e32 v4, v34, v4
	ds_write_b32 v36, v4 offset:16
.LBB14_41:
	s_or_b64 exec, exec, s[34:35]
	v_lshrrev_b32_e32 v4, s80, v13
	v_and_b32_e32 v40, s88, v4
	v_mul_lo_u32 v4, v40, 20
	v_lshl_add_u32 v39, v35, 2, v4
	v_and_b32_e32 v4, 1, v40
	v_mov_b32_e32 v5, 0
	v_lshl_add_u64 v[6:7], v[4:5], 0, -1
	v_cmp_ne_u32_e64 s[34:35], 0, v4
	; wave barrier
	s_nop 1
	v_xor_b32_e32 v6, s34, v6
	v_xor_b32_e32 v4, s35, v7
	v_and_b32_e32 v41, exec_lo, v6
	v_lshlrev_b32_e32 v7, 30, v40
	v_mov_b32_e32 v6, v5
	v_cmp_gt_i64_e64 s[34:35], 0, v[6:7]
	v_not_b32_e32 v6, v7
	v_ashrrev_i32_e32 v6, 31, v6
	v_and_b32_e32 v4, exec_hi, v4
	v_xor_b32_e32 v7, s35, v6
	v_xor_b32_e32 v6, s34, v6
	v_and_b32_e32 v4, v4, v7
	v_and_b32_e32 v41, v41, v6
	v_lshlrev_b32_e32 v7, 29, v40
	v_mov_b32_e32 v6, v5
	v_cmp_gt_i64_e64 s[34:35], 0, v[6:7]
	v_not_b32_e32 v6, v7
	v_ashrrev_i32_e32 v6, 31, v6
	v_xor_b32_e32 v7, s35, v6
	v_xor_b32_e32 v6, s34, v6
	v_and_b32_e32 v4, v4, v7
	v_and_b32_e32 v41, v41, v6
	v_lshlrev_b32_e32 v7, 28, v40
	v_mov_b32_e32 v6, v5
	v_cmp_gt_i64_e64 s[34:35], 0, v[6:7]
	v_not_b32_e32 v6, v7
	v_ashrrev_i32_e32 v6, 31, v6
	;; [unrolled: 9-line block ×6, first 2 shown]
	v_xor_b32_e32 v7, s35, v6
	v_xor_b32_e32 v6, s34, v6
	ds_read_b32 v38, v39 offset:16
	v_and_b32_e32 v6, v41, v6
	v_and_b32_e32 v7, v4, v7
	v_mbcnt_lo_u32_b32 v4, v6, 0
	v_mbcnt_hi_u32_b32 v40, v7, v4
	v_cmp_eq_u32_e64 s[34:35], 0, v40
	v_cmp_ne_u64_e64 s[36:37], 0, v[6:7]
	s_and_b64 s[36:37], s[36:37], s[34:35]
	; wave barrier
	s_and_saveexec_b64 s[34:35], s[36:37]
	s_cbranch_execz .LBB14_43
; %bb.42:
	v_bcnt_u32_b32 v4, v6, 0
	v_bcnt_u32_b32 v4, v7, v4
	s_waitcnt lgkmcnt(0)
	v_add_u32_e32 v4, v38, v4
	ds_write_b32 v39, v4 offset:16
.LBB14_43:
	s_or_b64 exec, exec, s[34:35]
	v_lshrrev_b32_e32 v4, s80, v12
	v_and_b32_e32 v43, s88, v4
	v_mul_lo_u32 v4, v43, 20
	v_lshl_add_u32 v42, v35, 2, v4
	v_and_b32_e32 v4, 1, v43
	v_lshl_add_u64 v[6:7], v[4:5], 0, -1
	v_cmp_ne_u32_e64 s[34:35], 0, v4
	; wave barrier
	s_nop 1
	v_xor_b32_e32 v6, s34, v6
	v_xor_b32_e32 v4, s35, v7
	v_and_b32_e32 v44, exec_lo, v6
	v_lshlrev_b32_e32 v7, 30, v43
	v_mov_b32_e32 v6, v5
	v_cmp_gt_i64_e64 s[34:35], 0, v[6:7]
	v_not_b32_e32 v6, v7
	v_ashrrev_i32_e32 v6, 31, v6
	v_and_b32_e32 v4, exec_hi, v4
	v_xor_b32_e32 v7, s35, v6
	v_xor_b32_e32 v6, s34, v6
	v_and_b32_e32 v4, v4, v7
	v_and_b32_e32 v44, v44, v6
	v_lshlrev_b32_e32 v7, 29, v43
	v_mov_b32_e32 v6, v5
	v_cmp_gt_i64_e64 s[34:35], 0, v[6:7]
	v_not_b32_e32 v6, v7
	v_ashrrev_i32_e32 v6, 31, v6
	v_xor_b32_e32 v7, s35, v6
	v_xor_b32_e32 v6, s34, v6
	v_and_b32_e32 v4, v4, v7
	v_and_b32_e32 v44, v44, v6
	v_lshlrev_b32_e32 v7, 28, v43
	v_mov_b32_e32 v6, v5
	v_cmp_gt_i64_e64 s[34:35], 0, v[6:7]
	v_not_b32_e32 v6, v7
	v_ashrrev_i32_e32 v6, 31, v6
	;; [unrolled: 9-line block ×5, first 2 shown]
	v_xor_b32_e32 v7, s35, v6
	v_xor_b32_e32 v6, s34, v6
	v_and_b32_e32 v4, v4, v7
	v_lshlrev_b32_e32 v7, 24, v43
	v_and_b32_e32 v44, v44, v6
	v_mov_b32_e32 v6, v5
	v_not_b32_e32 v5, v7
	v_cmp_gt_i64_e64 s[34:35], 0, v[6:7]
	v_ashrrev_i32_e32 v5, 31, v5
	ds_read_b32 v41, v42 offset:16
	v_xor_b32_e32 v6, s35, v5
	v_xor_b32_e32 v7, s34, v5
	v_and_b32_e32 v5, v4, v6
	v_and_b32_e32 v4, v44, v7
	v_mbcnt_lo_u32_b32 v6, v4, 0
	v_mbcnt_hi_u32_b32 v43, v5, v6
	v_cmp_eq_u32_e64 s[34:35], 0, v43
	v_cmp_ne_u64_e64 s[36:37], 0, v[4:5]
	s_and_b64 s[36:37], s[36:37], s[34:35]
	; wave barrier
	s_and_saveexec_b64 s[34:35], s[36:37]
	s_cbranch_execz .LBB14_45
; %bb.44:
	v_bcnt_u32_b32 v4, v4, 0
	v_bcnt_u32_b32 v4, v5, v4
	s_waitcnt lgkmcnt(0)
	v_add_u32_e32 v4, v41, v4
	ds_write_b32 v42, v4 offset:16
.LBB14_45:
	s_or_b64 exec, exec, s[34:35]
	v_lshrrev_b32_e32 v4, s80, v16
	v_and_b32_e32 v46, s88, v4
	v_mul_lo_u32 v4, v46, 20
	v_lshl_add_u32 v45, v35, 2, v4
	v_and_b32_e32 v4, 1, v46
	v_mov_b32_e32 v5, 0
	v_lshl_add_u64 v[6:7], v[4:5], 0, -1
	v_cmp_ne_u32_e64 s[34:35], 0, v4
	; wave barrier
	s_nop 1
	v_xor_b32_e32 v6, s34, v6
	v_xor_b32_e32 v4, s35, v7
	v_and_b32_e32 v47, exec_lo, v6
	v_lshlrev_b32_e32 v7, 30, v46
	v_mov_b32_e32 v6, v5
	v_cmp_gt_i64_e64 s[34:35], 0, v[6:7]
	v_not_b32_e32 v6, v7
	v_ashrrev_i32_e32 v6, 31, v6
	v_and_b32_e32 v4, exec_hi, v4
	v_xor_b32_e32 v7, s35, v6
	v_xor_b32_e32 v6, s34, v6
	v_and_b32_e32 v4, v4, v7
	v_and_b32_e32 v47, v47, v6
	v_lshlrev_b32_e32 v7, 29, v46
	v_mov_b32_e32 v6, v5
	v_cmp_gt_i64_e64 s[34:35], 0, v[6:7]
	v_not_b32_e32 v6, v7
	v_ashrrev_i32_e32 v6, 31, v6
	v_xor_b32_e32 v7, s35, v6
	v_xor_b32_e32 v6, s34, v6
	v_and_b32_e32 v4, v4, v7
	v_and_b32_e32 v47, v47, v6
	v_lshlrev_b32_e32 v7, 28, v46
	v_mov_b32_e32 v6, v5
	v_cmp_gt_i64_e64 s[34:35], 0, v[6:7]
	v_not_b32_e32 v6, v7
	v_ashrrev_i32_e32 v6, 31, v6
	;; [unrolled: 9-line block ×6, first 2 shown]
	v_xor_b32_e32 v7, s35, v6
	v_xor_b32_e32 v6, s34, v6
	ds_read_b32 v44, v45 offset:16
	v_and_b32_e32 v6, v47, v6
	v_and_b32_e32 v7, v4, v7
	v_mbcnt_lo_u32_b32 v4, v6, 0
	v_mbcnt_hi_u32_b32 v46, v7, v4
	v_cmp_eq_u32_e64 s[34:35], 0, v46
	v_cmp_ne_u64_e64 s[36:37], 0, v[6:7]
	s_and_b64 s[36:37], s[36:37], s[34:35]
	; wave barrier
	s_and_saveexec_b64 s[34:35], s[36:37]
	s_cbranch_execz .LBB14_47
; %bb.46:
	v_bcnt_u32_b32 v4, v6, 0
	v_bcnt_u32_b32 v4, v7, v4
	s_waitcnt lgkmcnt(0)
	v_add_u32_e32 v4, v44, v4
	ds_write_b32 v45, v4 offset:16
.LBB14_47:
	s_or_b64 exec, exec, s[34:35]
	v_lshrrev_b32_e32 v4, s80, v15
	v_and_b32_e32 v49, s88, v4
	v_mul_lo_u32 v4, v49, 20
	v_lshl_add_u32 v48, v35, 2, v4
	v_and_b32_e32 v4, 1, v49
	v_lshl_add_u64 v[6:7], v[4:5], 0, -1
	v_cmp_ne_u32_e64 s[34:35], 0, v4
	; wave barrier
	s_nop 1
	v_xor_b32_e32 v6, s34, v6
	v_xor_b32_e32 v4, s35, v7
	v_and_b32_e32 v50, exec_lo, v6
	v_lshlrev_b32_e32 v7, 30, v49
	v_mov_b32_e32 v6, v5
	v_cmp_gt_i64_e64 s[34:35], 0, v[6:7]
	v_not_b32_e32 v6, v7
	v_ashrrev_i32_e32 v6, 31, v6
	v_and_b32_e32 v4, exec_hi, v4
	v_xor_b32_e32 v7, s35, v6
	v_xor_b32_e32 v6, s34, v6
	v_and_b32_e32 v4, v4, v7
	v_and_b32_e32 v50, v50, v6
	v_lshlrev_b32_e32 v7, 29, v49
	v_mov_b32_e32 v6, v5
	v_cmp_gt_i64_e64 s[34:35], 0, v[6:7]
	v_not_b32_e32 v6, v7
	v_ashrrev_i32_e32 v6, 31, v6
	v_xor_b32_e32 v7, s35, v6
	v_xor_b32_e32 v6, s34, v6
	v_and_b32_e32 v4, v4, v7
	v_and_b32_e32 v50, v50, v6
	v_lshlrev_b32_e32 v7, 28, v49
	v_mov_b32_e32 v6, v5
	v_cmp_gt_i64_e64 s[34:35], 0, v[6:7]
	v_not_b32_e32 v6, v7
	v_ashrrev_i32_e32 v6, 31, v6
	;; [unrolled: 9-line block ×5, first 2 shown]
	v_xor_b32_e32 v7, s35, v6
	v_xor_b32_e32 v6, s34, v6
	v_and_b32_e32 v4, v4, v7
	v_lshlrev_b32_e32 v7, 24, v49
	v_and_b32_e32 v50, v50, v6
	v_mov_b32_e32 v6, v5
	v_not_b32_e32 v5, v7
	v_cmp_gt_i64_e64 s[34:35], 0, v[6:7]
	v_ashrrev_i32_e32 v5, 31, v5
	ds_read_b32 v47, v48 offset:16
	v_xor_b32_e32 v6, s35, v5
	v_xor_b32_e32 v7, s34, v5
	v_and_b32_e32 v5, v4, v6
	v_and_b32_e32 v4, v50, v7
	v_mbcnt_lo_u32_b32 v6, v4, 0
	v_mbcnt_hi_u32_b32 v49, v5, v6
	v_cmp_eq_u32_e64 s[34:35], 0, v49
	v_cmp_ne_u64_e64 s[36:37], 0, v[4:5]
	s_and_b64 s[36:37], s[36:37], s[34:35]
	; wave barrier
	s_and_saveexec_b64 s[34:35], s[36:37]
	s_cbranch_execz .LBB14_49
; %bb.48:
	v_bcnt_u32_b32 v4, v4, 0
	v_bcnt_u32_b32 v4, v5, v4
	s_waitcnt lgkmcnt(0)
	v_add_u32_e32 v4, v47, v4
	ds_write_b32 v48, v4 offset:16
.LBB14_49:
	s_or_b64 exec, exec, s[34:35]
	v_lshrrev_b32_e32 v4, s80, v18
	v_and_b32_e32 v52, s88, v4
	v_mul_lo_u32 v4, v52, 20
	v_lshl_add_u32 v51, v35, 2, v4
	v_and_b32_e32 v4, 1, v52
	v_mov_b32_e32 v5, 0
	v_lshl_add_u64 v[6:7], v[4:5], 0, -1
	v_cmp_ne_u32_e64 s[34:35], 0, v4
	; wave barrier
	s_nop 1
	v_xor_b32_e32 v6, s34, v6
	v_xor_b32_e32 v4, s35, v7
	v_and_b32_e32 v53, exec_lo, v6
	v_lshlrev_b32_e32 v7, 30, v52
	v_mov_b32_e32 v6, v5
	v_cmp_gt_i64_e64 s[34:35], 0, v[6:7]
	v_not_b32_e32 v6, v7
	v_ashrrev_i32_e32 v6, 31, v6
	v_and_b32_e32 v4, exec_hi, v4
	v_xor_b32_e32 v7, s35, v6
	v_xor_b32_e32 v6, s34, v6
	v_and_b32_e32 v4, v4, v7
	v_and_b32_e32 v53, v53, v6
	v_lshlrev_b32_e32 v7, 29, v52
	v_mov_b32_e32 v6, v5
	v_cmp_gt_i64_e64 s[34:35], 0, v[6:7]
	v_not_b32_e32 v6, v7
	v_ashrrev_i32_e32 v6, 31, v6
	v_xor_b32_e32 v7, s35, v6
	v_xor_b32_e32 v6, s34, v6
	v_and_b32_e32 v4, v4, v7
	v_and_b32_e32 v53, v53, v6
	v_lshlrev_b32_e32 v7, 28, v52
	v_mov_b32_e32 v6, v5
	v_cmp_gt_i64_e64 s[34:35], 0, v[6:7]
	v_not_b32_e32 v6, v7
	v_ashrrev_i32_e32 v6, 31, v6
	;; [unrolled: 9-line block ×6, first 2 shown]
	v_xor_b32_e32 v7, s35, v6
	v_xor_b32_e32 v6, s34, v6
	ds_read_b32 v50, v51 offset:16
	v_and_b32_e32 v6, v53, v6
	v_and_b32_e32 v7, v4, v7
	v_mbcnt_lo_u32_b32 v4, v6, 0
	v_mbcnt_hi_u32_b32 v52, v7, v4
	v_cmp_eq_u32_e64 s[34:35], 0, v52
	v_cmp_ne_u64_e64 s[36:37], 0, v[6:7]
	s_and_b64 s[36:37], s[36:37], s[34:35]
	; wave barrier
	s_and_saveexec_b64 s[34:35], s[36:37]
	s_cbranch_execz .LBB14_51
; %bb.50:
	v_bcnt_u32_b32 v4, v6, 0
	v_bcnt_u32_b32 v4, v7, v4
	s_waitcnt lgkmcnt(0)
	v_add_u32_e32 v4, v50, v4
	ds_write_b32 v51, v4 offset:16
.LBB14_51:
	s_or_b64 exec, exec, s[34:35]
	v_lshrrev_b32_e32 v4, s80, v17
	v_and_b32_e32 v55, s88, v4
	v_mul_lo_u32 v4, v55, 20
	v_lshl_add_u32 v54, v35, 2, v4
	v_and_b32_e32 v4, 1, v55
	v_lshl_add_u64 v[6:7], v[4:5], 0, -1
	v_cmp_ne_u32_e64 s[34:35], 0, v4
	; wave barrier
	s_nop 1
	v_xor_b32_e32 v6, s34, v6
	v_xor_b32_e32 v4, s35, v7
	v_and_b32_e32 v56, exec_lo, v6
	v_lshlrev_b32_e32 v7, 30, v55
	v_mov_b32_e32 v6, v5
	v_cmp_gt_i64_e64 s[34:35], 0, v[6:7]
	v_not_b32_e32 v6, v7
	v_ashrrev_i32_e32 v6, 31, v6
	v_and_b32_e32 v4, exec_hi, v4
	v_xor_b32_e32 v7, s35, v6
	v_xor_b32_e32 v6, s34, v6
	v_and_b32_e32 v4, v4, v7
	v_and_b32_e32 v56, v56, v6
	v_lshlrev_b32_e32 v7, 29, v55
	v_mov_b32_e32 v6, v5
	v_cmp_gt_i64_e64 s[34:35], 0, v[6:7]
	v_not_b32_e32 v6, v7
	v_ashrrev_i32_e32 v6, 31, v6
	v_xor_b32_e32 v7, s35, v6
	v_xor_b32_e32 v6, s34, v6
	v_and_b32_e32 v4, v4, v7
	v_and_b32_e32 v56, v56, v6
	v_lshlrev_b32_e32 v7, 28, v55
	v_mov_b32_e32 v6, v5
	v_cmp_gt_i64_e64 s[34:35], 0, v[6:7]
	v_not_b32_e32 v6, v7
	v_ashrrev_i32_e32 v6, 31, v6
	;; [unrolled: 9-line block ×5, first 2 shown]
	v_xor_b32_e32 v7, s35, v6
	v_xor_b32_e32 v6, s34, v6
	v_and_b32_e32 v4, v4, v7
	v_lshlrev_b32_e32 v7, 24, v55
	v_and_b32_e32 v56, v56, v6
	v_mov_b32_e32 v6, v5
	v_not_b32_e32 v5, v7
	v_cmp_gt_i64_e64 s[34:35], 0, v[6:7]
	v_ashrrev_i32_e32 v5, 31, v5
	ds_read_b32 v53, v54 offset:16
	v_xor_b32_e32 v6, s35, v5
	v_xor_b32_e32 v7, s34, v5
	v_and_b32_e32 v5, v4, v6
	v_and_b32_e32 v4, v56, v7
	v_mbcnt_lo_u32_b32 v6, v4, 0
	v_mbcnt_hi_u32_b32 v55, v5, v6
	v_cmp_eq_u32_e64 s[34:35], 0, v55
	v_cmp_ne_u64_e64 s[36:37], 0, v[4:5]
	s_and_b64 s[36:37], s[36:37], s[34:35]
	; wave barrier
	s_and_saveexec_b64 s[34:35], s[36:37]
	s_cbranch_execz .LBB14_53
; %bb.52:
	v_bcnt_u32_b32 v4, v4, 0
	v_bcnt_u32_b32 v4, v5, v4
	s_waitcnt lgkmcnt(0)
	v_add_u32_e32 v4, v53, v4
	ds_write_b32 v54, v4 offset:16
.LBB14_53:
	s_or_b64 exec, exec, s[34:35]
	v_lshrrev_b32_e32 v4, s80, v20
	v_and_b32_e32 v58, s88, v4
	v_mul_lo_u32 v4, v58, 20
	v_lshl_add_u32 v57, v35, 2, v4
	v_and_b32_e32 v4, 1, v58
	v_mov_b32_e32 v5, 0
	v_lshl_add_u64 v[6:7], v[4:5], 0, -1
	v_cmp_ne_u32_e64 s[34:35], 0, v4
	; wave barrier
	s_nop 1
	v_xor_b32_e32 v6, s34, v6
	v_xor_b32_e32 v4, s35, v7
	v_and_b32_e32 v59, exec_lo, v6
	v_lshlrev_b32_e32 v7, 30, v58
	v_mov_b32_e32 v6, v5
	v_cmp_gt_i64_e64 s[34:35], 0, v[6:7]
	v_not_b32_e32 v6, v7
	v_ashrrev_i32_e32 v6, 31, v6
	v_and_b32_e32 v4, exec_hi, v4
	v_xor_b32_e32 v7, s35, v6
	v_xor_b32_e32 v6, s34, v6
	v_and_b32_e32 v4, v4, v7
	v_and_b32_e32 v59, v59, v6
	v_lshlrev_b32_e32 v7, 29, v58
	v_mov_b32_e32 v6, v5
	v_cmp_gt_i64_e64 s[34:35], 0, v[6:7]
	v_not_b32_e32 v6, v7
	v_ashrrev_i32_e32 v6, 31, v6
	v_xor_b32_e32 v7, s35, v6
	v_xor_b32_e32 v6, s34, v6
	v_and_b32_e32 v4, v4, v7
	v_and_b32_e32 v59, v59, v6
	v_lshlrev_b32_e32 v7, 28, v58
	v_mov_b32_e32 v6, v5
	v_cmp_gt_i64_e64 s[34:35], 0, v[6:7]
	v_not_b32_e32 v6, v7
	v_ashrrev_i32_e32 v6, 31, v6
	;; [unrolled: 9-line block ×6, first 2 shown]
	v_xor_b32_e32 v7, s35, v6
	v_xor_b32_e32 v6, s34, v6
	ds_read_b32 v56, v57 offset:16
	v_and_b32_e32 v6, v59, v6
	v_and_b32_e32 v7, v4, v7
	v_mbcnt_lo_u32_b32 v4, v6, 0
	v_mbcnt_hi_u32_b32 v58, v7, v4
	v_cmp_eq_u32_e64 s[34:35], 0, v58
	v_cmp_ne_u64_e64 s[36:37], 0, v[6:7]
	s_and_b64 s[36:37], s[36:37], s[34:35]
	; wave barrier
	s_and_saveexec_b64 s[34:35], s[36:37]
	s_cbranch_execz .LBB14_55
; %bb.54:
	v_bcnt_u32_b32 v4, v6, 0
	v_bcnt_u32_b32 v4, v7, v4
	s_waitcnt lgkmcnt(0)
	v_add_u32_e32 v4, v56, v4
	ds_write_b32 v57, v4 offset:16
.LBB14_55:
	s_or_b64 exec, exec, s[34:35]
	v_lshrrev_b32_e32 v4, s80, v19
	v_and_b32_e32 v61, s88, v4
	v_mul_lo_u32 v4, v61, 20
	v_lshl_add_u32 v60, v35, 2, v4
	v_and_b32_e32 v4, 1, v61
	v_lshl_add_u64 v[6:7], v[4:5], 0, -1
	v_cmp_ne_u32_e64 s[34:35], 0, v4
	; wave barrier
	s_nop 1
	v_xor_b32_e32 v6, s34, v6
	v_xor_b32_e32 v4, s35, v7
	v_and_b32_e32 v62, exec_lo, v6
	v_lshlrev_b32_e32 v7, 30, v61
	v_mov_b32_e32 v6, v5
	v_cmp_gt_i64_e64 s[34:35], 0, v[6:7]
	v_not_b32_e32 v6, v7
	v_ashrrev_i32_e32 v6, 31, v6
	v_and_b32_e32 v4, exec_hi, v4
	v_xor_b32_e32 v7, s35, v6
	v_xor_b32_e32 v6, s34, v6
	v_and_b32_e32 v4, v4, v7
	v_and_b32_e32 v62, v62, v6
	v_lshlrev_b32_e32 v7, 29, v61
	v_mov_b32_e32 v6, v5
	v_cmp_gt_i64_e64 s[34:35], 0, v[6:7]
	v_not_b32_e32 v6, v7
	v_ashrrev_i32_e32 v6, 31, v6
	v_xor_b32_e32 v7, s35, v6
	v_xor_b32_e32 v6, s34, v6
	v_and_b32_e32 v4, v4, v7
	v_and_b32_e32 v62, v62, v6
	v_lshlrev_b32_e32 v7, 28, v61
	v_mov_b32_e32 v6, v5
	v_cmp_gt_i64_e64 s[34:35], 0, v[6:7]
	v_not_b32_e32 v6, v7
	v_ashrrev_i32_e32 v6, 31, v6
	v_xor_b32_e32 v7, s35, v6
	v_xor_b32_e32 v6, s34, v6
	v_and_b32_e32 v4, v4, v7
	v_and_b32_e32 v62, v62, v6
	v_lshlrev_b32_e32 v7, 27, v61
	v_mov_b32_e32 v6, v5
	v_cmp_gt_i64_e64 s[34:35], 0, v[6:7]
	v_not_b32_e32 v6, v7
	v_ashrrev_i32_e32 v6, 31, v6
	v_xor_b32_e32 v7, s35, v6
	v_xor_b32_e32 v6, s34, v6
	v_and_b32_e32 v4, v4, v7
	v_and_b32_e32 v62, v62, v6
	v_lshlrev_b32_e32 v7, 26, v61
	v_mov_b32_e32 v6, v5
	v_cmp_gt_i64_e64 s[34:35], 0, v[6:7]
	v_not_b32_e32 v6, v7
	v_ashrrev_i32_e32 v6, 31, v6
	v_xor_b32_e32 v7, s35, v6
	v_xor_b32_e32 v6, s34, v6
	v_and_b32_e32 v4, v4, v7
	v_and_b32_e32 v62, v62, v6
	v_lshlrev_b32_e32 v7, 25, v61
	v_mov_b32_e32 v6, v5
	v_cmp_gt_i64_e64 s[34:35], 0, v[6:7]
	v_not_b32_e32 v6, v7
	v_ashrrev_i32_e32 v6, 31, v6
	v_xor_b32_e32 v7, s35, v6
	v_xor_b32_e32 v6, s34, v6
	v_and_b32_e32 v4, v4, v7
	v_lshlrev_b32_e32 v7, 24, v61
	v_and_b32_e32 v62, v62, v6
	v_mov_b32_e32 v6, v5
	v_not_b32_e32 v5, v7
	v_cmp_gt_i64_e64 s[34:35], 0, v[6:7]
	v_ashrrev_i32_e32 v5, 31, v5
	ds_read_b32 v59, v60 offset:16
	v_xor_b32_e32 v6, s35, v5
	v_xor_b32_e32 v7, s34, v5
	v_and_b32_e32 v5, v4, v6
	v_and_b32_e32 v4, v62, v7
	v_mbcnt_lo_u32_b32 v6, v4, 0
	v_mbcnt_hi_u32_b32 v61, v5, v6
	v_cmp_eq_u32_e64 s[34:35], 0, v61
	v_cmp_ne_u64_e64 s[36:37], 0, v[4:5]
	s_and_b64 s[36:37], s[36:37], s[34:35]
	; wave barrier
	s_and_saveexec_b64 s[34:35], s[36:37]
	s_cbranch_execz .LBB14_57
; %bb.56:
	v_bcnt_u32_b32 v4, v4, 0
	v_bcnt_u32_b32 v4, v5, v4
	s_waitcnt lgkmcnt(0)
	v_add_u32_e32 v4, v59, v4
	ds_write_b32 v60, v4 offset:16
.LBB14_57:
	s_or_b64 exec, exec, s[34:35]
	v_lshrrev_b32_e32 v4, s80, v22
	v_and_b32_e32 v64, s88, v4
	v_mul_lo_u32 v4, v64, 20
	v_lshl_add_u32 v63, v35, 2, v4
	v_and_b32_e32 v4, 1, v64
	v_mov_b32_e32 v5, 0
	v_lshl_add_u64 v[6:7], v[4:5], 0, -1
	v_cmp_ne_u32_e64 s[34:35], 0, v4
	; wave barrier
	s_nop 1
	v_xor_b32_e32 v6, s34, v6
	v_xor_b32_e32 v4, s35, v7
	v_and_b32_e32 v65, exec_lo, v6
	v_lshlrev_b32_e32 v7, 30, v64
	v_mov_b32_e32 v6, v5
	v_cmp_gt_i64_e64 s[34:35], 0, v[6:7]
	v_not_b32_e32 v6, v7
	v_ashrrev_i32_e32 v6, 31, v6
	v_and_b32_e32 v4, exec_hi, v4
	v_xor_b32_e32 v7, s35, v6
	v_xor_b32_e32 v6, s34, v6
	v_and_b32_e32 v4, v4, v7
	v_and_b32_e32 v65, v65, v6
	v_lshlrev_b32_e32 v7, 29, v64
	v_mov_b32_e32 v6, v5
	v_cmp_gt_i64_e64 s[34:35], 0, v[6:7]
	v_not_b32_e32 v6, v7
	v_ashrrev_i32_e32 v6, 31, v6
	v_xor_b32_e32 v7, s35, v6
	v_xor_b32_e32 v6, s34, v6
	v_and_b32_e32 v4, v4, v7
	v_and_b32_e32 v65, v65, v6
	v_lshlrev_b32_e32 v7, 28, v64
	v_mov_b32_e32 v6, v5
	v_cmp_gt_i64_e64 s[34:35], 0, v[6:7]
	v_not_b32_e32 v6, v7
	v_ashrrev_i32_e32 v6, 31, v6
	;; [unrolled: 9-line block ×6, first 2 shown]
	v_xor_b32_e32 v7, s35, v6
	v_xor_b32_e32 v6, s34, v6
	ds_read_b32 v62, v63 offset:16
	v_and_b32_e32 v6, v65, v6
	v_and_b32_e32 v7, v4, v7
	v_mbcnt_lo_u32_b32 v4, v6, 0
	v_mbcnt_hi_u32_b32 v64, v7, v4
	v_cmp_eq_u32_e64 s[34:35], 0, v64
	v_cmp_ne_u64_e64 s[36:37], 0, v[6:7]
	s_and_b64 s[36:37], s[36:37], s[34:35]
	; wave barrier
	s_and_saveexec_b64 s[34:35], s[36:37]
	s_cbranch_execz .LBB14_59
; %bb.58:
	v_bcnt_u32_b32 v4, v6, 0
	v_bcnt_u32_b32 v4, v7, v4
	s_waitcnt lgkmcnt(0)
	v_add_u32_e32 v4, v62, v4
	ds_write_b32 v63, v4 offset:16
.LBB14_59:
	s_or_b64 exec, exec, s[34:35]
	v_lshrrev_b32_e32 v4, s80, v21
	v_and_b32_e32 v67, s88, v4
	v_mul_lo_u32 v4, v67, 20
	v_lshl_add_u32 v66, v35, 2, v4
	v_and_b32_e32 v4, 1, v67
	v_lshl_add_u64 v[6:7], v[4:5], 0, -1
	v_cmp_ne_u32_e64 s[34:35], 0, v4
	; wave barrier
	s_nop 1
	v_xor_b32_e32 v6, s34, v6
	v_xor_b32_e32 v4, s35, v7
	v_and_b32_e32 v68, exec_lo, v6
	v_lshlrev_b32_e32 v7, 30, v67
	v_mov_b32_e32 v6, v5
	v_cmp_gt_i64_e64 s[34:35], 0, v[6:7]
	v_not_b32_e32 v6, v7
	v_ashrrev_i32_e32 v6, 31, v6
	v_and_b32_e32 v4, exec_hi, v4
	v_xor_b32_e32 v7, s35, v6
	v_xor_b32_e32 v6, s34, v6
	v_and_b32_e32 v4, v4, v7
	v_and_b32_e32 v68, v68, v6
	v_lshlrev_b32_e32 v7, 29, v67
	v_mov_b32_e32 v6, v5
	v_cmp_gt_i64_e64 s[34:35], 0, v[6:7]
	v_not_b32_e32 v6, v7
	v_ashrrev_i32_e32 v6, 31, v6
	v_xor_b32_e32 v7, s35, v6
	v_xor_b32_e32 v6, s34, v6
	v_and_b32_e32 v4, v4, v7
	v_and_b32_e32 v68, v68, v6
	v_lshlrev_b32_e32 v7, 28, v67
	v_mov_b32_e32 v6, v5
	v_cmp_gt_i64_e64 s[34:35], 0, v[6:7]
	v_not_b32_e32 v6, v7
	v_ashrrev_i32_e32 v6, 31, v6
	;; [unrolled: 9-line block ×5, first 2 shown]
	v_xor_b32_e32 v7, s35, v6
	v_xor_b32_e32 v6, s34, v6
	v_and_b32_e32 v4, v4, v7
	v_lshlrev_b32_e32 v7, 24, v67
	v_and_b32_e32 v68, v68, v6
	v_mov_b32_e32 v6, v5
	v_not_b32_e32 v5, v7
	v_cmp_gt_i64_e64 s[34:35], 0, v[6:7]
	v_ashrrev_i32_e32 v5, 31, v5
	ds_read_b32 v65, v66 offset:16
	v_xor_b32_e32 v6, s35, v5
	v_xor_b32_e32 v7, s34, v5
	v_and_b32_e32 v5, v4, v6
	v_and_b32_e32 v4, v68, v7
	v_mbcnt_lo_u32_b32 v6, v4, 0
	v_mbcnt_hi_u32_b32 v67, v5, v6
	v_cmp_eq_u32_e64 s[34:35], 0, v67
	v_cmp_ne_u64_e64 s[36:37], 0, v[4:5]
	s_and_b64 s[36:37], s[36:37], s[34:35]
	; wave barrier
	s_and_saveexec_b64 s[34:35], s[36:37]
	s_cbranch_execz .LBB14_61
; %bb.60:
	v_bcnt_u32_b32 v4, v4, 0
	v_bcnt_u32_b32 v4, v5, v4
	s_waitcnt lgkmcnt(0)
	v_add_u32_e32 v4, v65, v4
	ds_write_b32 v66, v4 offset:16
.LBB14_61:
	s_or_b64 exec, exec, s[34:35]
	v_lshrrev_b32_e32 v4, s80, v24
	v_and_b32_e32 v70, s88, v4
	v_mul_lo_u32 v4, v70, 20
	v_lshl_add_u32 v69, v35, 2, v4
	v_and_b32_e32 v4, 1, v70
	v_mov_b32_e32 v5, 0
	v_lshl_add_u64 v[6:7], v[4:5], 0, -1
	v_cmp_ne_u32_e64 s[34:35], 0, v4
	; wave barrier
	s_nop 1
	v_xor_b32_e32 v6, s34, v6
	v_xor_b32_e32 v4, s35, v7
	v_and_b32_e32 v71, exec_lo, v6
	v_lshlrev_b32_e32 v7, 30, v70
	v_mov_b32_e32 v6, v5
	v_cmp_gt_i64_e64 s[34:35], 0, v[6:7]
	v_not_b32_e32 v6, v7
	v_ashrrev_i32_e32 v6, 31, v6
	v_and_b32_e32 v4, exec_hi, v4
	v_xor_b32_e32 v7, s35, v6
	v_xor_b32_e32 v6, s34, v6
	v_and_b32_e32 v4, v4, v7
	v_and_b32_e32 v71, v71, v6
	v_lshlrev_b32_e32 v7, 29, v70
	v_mov_b32_e32 v6, v5
	v_cmp_gt_i64_e64 s[34:35], 0, v[6:7]
	v_not_b32_e32 v6, v7
	v_ashrrev_i32_e32 v6, 31, v6
	v_xor_b32_e32 v7, s35, v6
	v_xor_b32_e32 v6, s34, v6
	v_and_b32_e32 v4, v4, v7
	v_and_b32_e32 v71, v71, v6
	v_lshlrev_b32_e32 v7, 28, v70
	v_mov_b32_e32 v6, v5
	v_cmp_gt_i64_e64 s[34:35], 0, v[6:7]
	v_not_b32_e32 v6, v7
	v_ashrrev_i32_e32 v6, 31, v6
	;; [unrolled: 9-line block ×6, first 2 shown]
	v_xor_b32_e32 v7, s35, v6
	v_xor_b32_e32 v6, s34, v6
	ds_read_b32 v68, v69 offset:16
	v_and_b32_e32 v6, v71, v6
	v_and_b32_e32 v7, v4, v7
	v_mbcnt_lo_u32_b32 v4, v6, 0
	v_mbcnt_hi_u32_b32 v70, v7, v4
	v_cmp_eq_u32_e64 s[34:35], 0, v70
	v_cmp_ne_u64_e64 s[36:37], 0, v[6:7]
	s_and_b64 s[36:37], s[36:37], s[34:35]
	; wave barrier
	s_and_saveexec_b64 s[34:35], s[36:37]
	s_cbranch_execz .LBB14_63
; %bb.62:
	v_bcnt_u32_b32 v4, v6, 0
	v_bcnt_u32_b32 v4, v7, v4
	s_waitcnt lgkmcnt(0)
	v_add_u32_e32 v4, v68, v4
	ds_write_b32 v69, v4 offset:16
.LBB14_63:
	s_or_b64 exec, exec, s[34:35]
	v_lshrrev_b32_e32 v4, s80, v23
	v_and_b32_e32 v72, s88, v4
	v_mul_lo_u32 v4, v72, 20
	v_lshl_add_u32 v35, v35, 2, v4
	v_and_b32_e32 v4, 1, v72
	v_lshl_add_u64 v[6:7], v[4:5], 0, -1
	v_cmp_ne_u32_e64 s[34:35], 0, v4
	; wave barrier
	s_nop 1
	v_xor_b32_e32 v6, s34, v6
	v_xor_b32_e32 v4, s35, v7
	v_and_b32_e32 v73, exec_lo, v6
	v_lshlrev_b32_e32 v7, 30, v72
	v_mov_b32_e32 v6, v5
	v_cmp_gt_i64_e64 s[34:35], 0, v[6:7]
	v_not_b32_e32 v6, v7
	v_ashrrev_i32_e32 v6, 31, v6
	v_and_b32_e32 v4, exec_hi, v4
	v_xor_b32_e32 v7, s35, v6
	v_xor_b32_e32 v6, s34, v6
	v_and_b32_e32 v4, v4, v7
	v_and_b32_e32 v73, v73, v6
	v_lshlrev_b32_e32 v7, 29, v72
	v_mov_b32_e32 v6, v5
	v_cmp_gt_i64_e64 s[34:35], 0, v[6:7]
	v_not_b32_e32 v6, v7
	v_ashrrev_i32_e32 v6, 31, v6
	v_xor_b32_e32 v7, s35, v6
	v_xor_b32_e32 v6, s34, v6
	v_and_b32_e32 v4, v4, v7
	v_and_b32_e32 v73, v73, v6
	v_lshlrev_b32_e32 v7, 28, v72
	v_mov_b32_e32 v6, v5
	v_cmp_gt_i64_e64 s[34:35], 0, v[6:7]
	v_not_b32_e32 v6, v7
	v_ashrrev_i32_e32 v6, 31, v6
	;; [unrolled: 9-line block ×5, first 2 shown]
	v_xor_b32_e32 v7, s35, v6
	v_xor_b32_e32 v6, s34, v6
	v_and_b32_e32 v4, v4, v7
	v_lshlrev_b32_e32 v7, 24, v72
	v_and_b32_e32 v73, v73, v6
	v_mov_b32_e32 v6, v5
	v_not_b32_e32 v5, v7
	v_cmp_gt_i64_e64 s[34:35], 0, v[6:7]
	v_ashrrev_i32_e32 v5, 31, v5
	ds_read_b32 v71, v35 offset:16
	v_xor_b32_e32 v6, s35, v5
	v_xor_b32_e32 v7, s34, v5
	v_and_b32_e32 v5, v4, v6
	v_and_b32_e32 v4, v73, v7
	v_mbcnt_lo_u32_b32 v6, v4, 0
	v_mbcnt_hi_u32_b32 v72, v5, v6
	v_cmp_eq_u32_e64 s[34:35], 0, v72
	v_cmp_ne_u64_e64 s[36:37], 0, v[4:5]
	s_and_b64 s[36:37], s[36:37], s[34:35]
	; wave barrier
	s_and_saveexec_b64 s[34:35], s[36:37]
	s_cbranch_execz .LBB14_65
; %bb.64:
	v_bcnt_u32_b32 v4, v4, 0
	v_bcnt_u32_b32 v4, v5, v4
	s_waitcnt lgkmcnt(0)
	v_add_u32_e32 v4, v71, v4
	ds_write_b32 v35, v4 offset:16
.LBB14_65:
	s_or_b64 exec, exec, s[34:35]
	; wave barrier
	s_waitcnt lgkmcnt(0)
	s_barrier
	ds_read2_b32 v[6:7], v25 offset0:4 offset1:5
	ds_read2_b32 v[4:5], v25 offset0:6 offset1:7
	ds_read_b32 v73, v25 offset:32
	s_waitcnt lgkmcnt(1)
	v_add3_u32 v74, v7, v6, v4
	s_waitcnt lgkmcnt(0)
	v_add3_u32 v73, v74, v5, v73
	v_and_b32_e32 v74, 15, v14
	v_cmp_ne_u32_e64 s[34:35], 0, v74
	v_mov_b32_dpp v75, v73 row_shr:1 row_mask:0xf bank_mask:0xf
	s_nop 0
	v_cndmask_b32_e64 v75, 0, v75, s[34:35]
	v_add_u32_e32 v73, v75, v73
	v_cmp_lt_u32_e64 s[34:35], 1, v74
	s_nop 0
	v_mov_b32_dpp v75, v73 row_shr:2 row_mask:0xf bank_mask:0xf
	v_cndmask_b32_e64 v75, 0, v75, s[34:35]
	v_add_u32_e32 v73, v73, v75
	v_cmp_lt_u32_e64 s[34:35], 3, v74
	s_nop 0
	v_mov_b32_dpp v75, v73 row_shr:4 row_mask:0xf bank_mask:0xf
	;; [unrolled: 5-line block ×3, first 2 shown]
	v_cndmask_b32_e64 v74, 0, v75, s[34:35]
	v_add_u32_e32 v73, v73, v74
	v_bfe_i32 v75, v14, 4, 1
	v_cmp_lt_u32_e64 s[34:35], 31, v14
	v_mov_b32_dpp v74, v73 row_bcast:15 row_mask:0xf bank_mask:0xf
	v_and_b32_e32 v74, v75, v74
	v_add_u32_e32 v73, v73, v74
	v_and_b32_e32 v75, 0x3c0, v2
	v_min_u32_e32 v75, 0xc0, v75
	v_mov_b32_dpp v74, v73 row_bcast:31 row_mask:0xf bank_mask:0xf
	v_cndmask_b32_e64 v74, 0, v74, s[34:35]
	v_or_b32_e32 v75, 63, v75
	v_add_u32_e32 v73, v73, v74
	v_lshrrev_b32_e32 v74, 6, v2
	v_cmp_eq_u32_e64 s[34:35], v2, v75
	s_and_saveexec_b64 s[36:37], s[34:35]
; %bb.66:
	v_lshlrev_b32_e32 v75, 2, v74
	ds_write_b32 v75, v73
; %bb.67:
	s_or_b64 exec, exec, s[36:37]
	v_cmp_gt_u32_e64 s[34:35], 4, v2
	s_waitcnt lgkmcnt(0)
	s_barrier
	s_and_saveexec_b64 s[36:37], s[34:35]
	s_cbranch_execz .LBB14_69
; %bb.68:
	v_lshlrev_b32_e32 v75, 2, v2
	ds_read_b32 v76, v75
	v_and_b32_e32 v77, 3, v14
	v_cmp_ne_u32_e64 s[34:35], 0, v77
	s_waitcnt lgkmcnt(0)
	v_mov_b32_dpp v78, v76 row_shr:1 row_mask:0xf bank_mask:0xf
	v_cndmask_b32_e64 v78, 0, v78, s[34:35]
	v_add_u32_e32 v76, v78, v76
	v_cmp_lt_u32_e64 s[34:35], 1, v77
	s_nop 0
	v_mov_b32_dpp v78, v76 row_shr:2 row_mask:0xf bank_mask:0xf
	v_cndmask_b32_e64 v77, 0, v78, s[34:35]
	v_add_u32_e32 v76, v76, v77
	ds_write_b32 v75, v76
.LBB14_69:
	s_or_b64 exec, exec, s[36:37]
	v_cmp_lt_u32_e64 s[34:35], 63, v2
	v_mov_b32_e32 v75, 0
	s_waitcnt lgkmcnt(0)
	s_barrier
	s_and_saveexec_b64 s[36:37], s[34:35]
; %bb.70:
	v_lshl_add_u32 v74, v74, 2, -4
	ds_read_b32 v75, v74
; %bb.71:
	s_or_b64 exec, exec, s[36:37]
	v_add_u32_e32 v74, -1, v14
	v_and_b32_e32 v76, 64, v14
	v_cmp_lt_i32_e64 s[34:35], v74, v76
	s_waitcnt lgkmcnt(0)
	v_add_u32_e32 v73, v75, v73
	v_cndmask_b32_e64 v74, v74, v14, s[34:35]
	v_lshlrev_b32_e32 v74, 2, v74
	ds_bpermute_b32 v73, v74, v73
	v_cmp_eq_u32_e64 s[34:35], 0, v14
	s_waitcnt lgkmcnt(0)
	s_nop 0
	v_cndmask_b32_e64 v73, v73, v75, s[34:35]
	v_cmp_ne_u32_e64 s[34:35], 0, v2
	s_nop 1
	v_cndmask_b32_e64 v73, 0, v73, s[34:35]
	v_add_u32_e32 v6, v73, v6
	v_add_u32_e32 v7, v6, v7
	;; [unrolled: 1-line block ×4, first 2 shown]
	ds_write2_b32 v25, v73, v6 offset0:4 offset1:5
	ds_write2_b32 v25, v7, v4 offset0:6 offset1:7
	ds_write_b32 v25, v5 offset:32
	s_waitcnt lgkmcnt(0)
	s_barrier
	ds_read_b32 v6, v48 offset:16
	ds_read_b32 v7, v51 offset:16
	;; [unrolled: 1-line block ×17, first 2 shown]
	v_add_u32_e32 v25, 1, v2
	s_movk_i32 s34, 0x100
	v_cmp_ne_u32_e64 s[34:35], s34, v25
	v_mov_b32_e32 v5, 0x1000
	s_and_saveexec_b64 s[36:37], s[34:35]
; %bb.72:
	v_mul_u32_u24_e32 v5, 20, v25
	ds_read_b32 v5, v5 offset:16
; %bb.73:
	s_or_b64 exec, exec, s[36:37]
	s_waitcnt lgkmcnt(7)
	v_add_u32_e32 v45, v27, v26
	s_waitcnt lgkmcnt(6)
	v_add3_u32 v42, v30, v28, v29
	s_waitcnt lgkmcnt(5)
	v_add3_u32 v39, v33, v31, v32
	v_add3_u32 v32, v49, v47, v6
	v_lshlrev_b32_e32 v6, 2, v45
	s_waitcnt lgkmcnt(0)
	s_barrier
	ds_write_b32 v6, v9 offset:2048
	v_lshlrev_b32_e32 v6, 2, v42
	v_add3_u32 v36, v37, v34, v35
	ds_write_b32 v6, v8 offset:2048
	v_lshlrev_b32_e32 v6, 2, v39
	v_add3_u32 v35, v40, v38, v69
	ds_write_b32 v6, v11 offset:2048
	v_lshlrev_b32_e32 v6, 2, v36
	v_add3_u32 v34, v43, v41, v73
	ds_write_b32 v6, v10 offset:2048
	v_lshlrev_b32_e32 v6, 2, v35
	v_add3_u32 v33, v46, v44, v74
	ds_write_b32 v6, v13 offset:2048
	v_lshlrev_b32_e32 v6, 2, v34
	ds_write_b32 v6, v12 offset:2048
	v_lshlrev_b32_e32 v6, 2, v33
	v_add3_u32 v31, v52, v50, v7
	ds_write_b32 v6, v16 offset:2048
	v_lshlrev_b32_e32 v6, 2, v32
	v_add3_u32 v30, v55, v53, v48
	;; [unrolled: 3-line block ×8, first 2 shown]
	ds_write_b32 v6, v21 offset:2048
	v_lshlrev_b32_e32 v6, 2, v25
	ds_write_b32 v6, v24 offset:2048
	v_lshlrev_b32_e32 v6, 2, v7
	ds_write_b32 v6, v23 offset:2048
	v_sub_u32_e32 v6, v5, v4
	v_lshl_add_u32 v10, s2, 8, v2
	v_mov_b32_e32 v11, 0
	v_lshl_add_u64 v[8:9], v[10:11], 2, s[84:85]
	v_or_b32_e32 v5, 2.0, v6
	s_mov_b64 s[36:37], 0
	s_brev_b32 s42, -4
	s_mov_b32 s43, s3
	v_mov_b32_e32 v15, 0
	s_waitcnt lgkmcnt(0)
	s_barrier
	global_store_dword v[8:9], v5, off sc1
                                        ; implicit-def: $sgpr34_sgpr35
	s_branch .LBB14_76
.LBB14_74:                              ;   in Loop: Header=BB14_76 Depth=1
	s_or_b64 exec, exec, s[40:41]
.LBB14_75:                              ;   in Loop: Header=BB14_76 Depth=1
	s_or_b64 exec, exec, s[38:39]
	v_and_b32_e32 v10, 0x3fffffff, v5
	v_add_u32_e32 v15, v10, v15
	v_cmp_gt_i32_e64 s[34:35], -2.0, v5
	s_and_b64 s[38:39], exec, s[34:35]
	s_or_b64 s[36:37], s[38:39], s[36:37]
	s_andn2_b64 exec, exec, s[36:37]
	s_cbranch_execz .LBB14_81
.LBB14_76:                              ; =>This Loop Header: Depth=1
                                        ;     Child Loop BB14_79 Depth 2
	s_or_b64 s[34:35], s[34:35], exec
	s_cmp_eq_u32 s43, 0
	s_cbranch_scc1 .LBB14_80
; %bb.77:                               ;   in Loop: Header=BB14_76 Depth=1
	s_add_i32 s43, s43, -1
	v_lshl_add_u32 v10, s43, 8, v2
	v_lshl_add_u64 v[12:13], v[10:11], 2, s[84:85]
	global_load_dword v5, v[12:13], off sc1
	s_waitcnt vmcnt(0)
	v_cmp_gt_u32_e64 s[34:35], 2.0, v5
	s_and_saveexec_b64 s[38:39], s[34:35]
	s_cbranch_execz .LBB14_75
; %bb.78:                               ;   in Loop: Header=BB14_76 Depth=1
	s_mov_b64 s[40:41], 0
.LBB14_79:                              ;   Parent Loop BB14_76 Depth=1
                                        ; =>  This Inner Loop Header: Depth=2
	global_load_dword v5, v[12:13], off sc1
	s_waitcnt vmcnt(0)
	v_cmp_lt_u32_e64 s[34:35], s42, v5
	s_or_b64 s[40:41], s[34:35], s[40:41]
	s_andn2_b64 exec, exec, s[40:41]
	s_cbranch_execnz .LBB14_79
	s_branch .LBB14_74
.LBB14_80:                              ;   in Loop: Header=BB14_76 Depth=1
                                        ; implicit-def: $sgpr43
	s_and_b64 s[38:39], exec, s[34:35]
	s_or_b64 s[36:37], s[38:39], s[36:37]
	s_andn2_b64 exec, exec, s[36:37]
	s_cbranch_execnz .LBB14_76
.LBB14_81:
	s_or_b64 exec, exec, s[36:37]
	v_add_u32_e32 v5, v15, v6
	v_or_b32_e32 v5, 0x80000000, v5
	v_lshlrev_b32_e32 v10, 3, v2
	global_store_dword v[8:9], v5, off sc1
	global_load_dwordx2 v[8:9], v10, s[76:77]
	v_sub_co_u32_e64 v12, s[34:35], v15, v4
	v_mov_b32_e32 v5, 0
	s_nop 0
	v_subb_co_u32_e64 v13, s[34:35], 0, 0, s[34:35]
	v_cmp_gt_u32_e64 s[34:35], s86, v2
	s_waitcnt vmcnt(0)
	v_lshl_add_u64 v[8:9], v[12:13], 0, v[8:9]
	ds_write_b64 v10, v[8:9]
	s_waitcnt lgkmcnt(0)
	s_barrier
	s_and_saveexec_b64 s[36:37], s[34:35]
	s_cbranch_execz .LBB14_83
; %bb.82:
	v_lshlrev_b32_e32 v8, 2, v2
	v_sub_u32_e32 v9, v10, v8
	ds_read_b32 v9, v9 offset:2048
	s_waitcnt lgkmcnt(0)
	v_lshrrev_b32_e32 v11, s80, v9
	v_and_b32_e32 v11, s88, v11
	v_lshlrev_b32_e32 v11, 3, v11
	ds_read_b64 v[12:13], v11
	v_xor_b32_e32 v11, 0x7fffffff, v9
	v_mov_b32_e32 v9, v5
	s_waitcnt lgkmcnt(0)
	v_lshl_add_u64 v[12:13], v[12:13], 2, s[70:71]
	v_lshl_add_u64 v[8:9], v[12:13], 0, v[8:9]
	global_store_dword v[8:9], v11, off
.LBB14_83:
	s_or_b64 exec, exec, s[36:37]
	v_add_u32_e32 v8, 0x100, v2
	v_cmp_gt_u32_e64 s[36:37], s86, v8
	s_and_saveexec_b64 s[38:39], s[36:37]
	s_cbranch_execz .LBB14_85
; %bb.84:
	v_lshlrev_b32_e32 v8, 2, v2
	v_sub_u32_e32 v9, v10, v8
	ds_read_b32 v9, v9 offset:3072
	s_waitcnt lgkmcnt(0)
	v_lshrrev_b32_e32 v11, s80, v9
	v_and_b32_e32 v11, s88, v11
	v_lshlrev_b32_e32 v11, 3, v11
	ds_read_b64 v[12:13], v11
	v_xor_b32_e32 v11, 0x7fffffff, v9
	v_mov_b32_e32 v9, 0
	s_waitcnt lgkmcnt(0)
	v_lshl_add_u64 v[12:13], v[12:13], 2, s[70:71]
	v_lshl_add_u64 v[8:9], v[12:13], 0, v[8:9]
	global_store_dword v[8:9], v11, off offset:1024
.LBB14_85:
	s_or_b64 exec, exec, s[38:39]
	v_add_u32_e32 v8, 0x200, v2
	v_cmp_gt_u32_e64 s[38:39], s86, v8
	s_and_saveexec_b64 s[40:41], s[38:39]
	s_cbranch_execz .LBB14_87
; %bb.86:
	v_lshlrev_b32_e32 v8, 2, v2
	v_sub_u32_e32 v9, v10, v8
	ds_read_b32 v9, v9 offset:4096
	s_waitcnt lgkmcnt(0)
	v_lshrrev_b32_e32 v11, s80, v9
	v_and_b32_e32 v11, s88, v11
	v_lshlrev_b32_e32 v11, 3, v11
	ds_read_b64 v[12:13], v11
	v_xor_b32_e32 v11, 0x7fffffff, v9
	v_mov_b32_e32 v9, 0
	s_waitcnt lgkmcnt(0)
	v_lshl_add_u64 v[12:13], v[12:13], 2, s[70:71]
	v_lshl_add_u64 v[8:9], v[12:13], 0, v[8:9]
	global_store_dword v[8:9], v11, off offset:2048
.LBB14_87:
	;; [unrolled: 21-line block ×3, first 2 shown]
	s_or_b64 exec, exec, s[42:43]
	v_or_b32_e32 v8, 0x400, v2
	v_cmp_gt_u32_e64 s[42:43], s86, v8
	s_and_saveexec_b64 s[44:45], s[42:43]
	s_cbranch_execz .LBB14_91
; %bb.90:
	v_lshlrev_b32_e32 v9, 2, v2
	v_sub_u32_e32 v9, v10, v9
	ds_read_b32 v9, v9 offset:6144
	v_lshlrev_b32_e32 v8, 2, v8
	s_waitcnt lgkmcnt(0)
	v_lshrrev_b32_e32 v11, s80, v9
	v_and_b32_e32 v11, s88, v11
	v_lshlrev_b32_e32 v11, 3, v11
	ds_read_b64 v[12:13], v11
	v_xor_b32_e32 v11, 0x7fffffff, v9
	v_mov_b32_e32 v9, 0
	s_waitcnt lgkmcnt(0)
	v_lshl_add_u64 v[12:13], v[12:13], 2, s[70:71]
	v_lshl_add_u64 v[8:9], v[12:13], 0, v[8:9]
	global_store_dword v[8:9], v11, off
.LBB14_91:
	s_or_b64 exec, exec, s[44:45]
	v_add_u32_e32 v8, 0x500, v2
	v_cmp_gt_u32_e64 s[44:45], s86, v8
	s_and_saveexec_b64 s[46:47], s[44:45]
	s_cbranch_execz .LBB14_93
; %bb.92:
	v_lshlrev_b32_e32 v9, 2, v2
	v_sub_u32_e32 v9, v10, v9
	ds_read_b32 v9, v9 offset:7168
	v_lshlrev_b32_e32 v8, 2, v8
	s_waitcnt lgkmcnt(0)
	v_lshrrev_b32_e32 v11, s80, v9
	v_and_b32_e32 v11, s88, v11
	v_lshlrev_b32_e32 v11, 3, v11
	ds_read_b64 v[12:13], v11
	v_xor_b32_e32 v11, 0x7fffffff, v9
	v_mov_b32_e32 v9, 0
	s_waitcnt lgkmcnt(0)
	v_lshl_add_u64 v[12:13], v[12:13], 2, s[70:71]
	v_lshl_add_u64 v[8:9], v[12:13], 0, v[8:9]
	global_store_dword v[8:9], v11, off
.LBB14_93:
	s_or_b64 exec, exec, s[46:47]
	v_add_u32_e32 v8, 0x600, v2
	;; [unrolled: 22-line block ×3, first 2 shown]
	v_cmp_gt_u32_e64 s[48:49], s86, v8
	s_and_saveexec_b64 s[50:51], s[48:49]
	s_cbranch_execz .LBB14_97
; %bb.96:
	v_lshlrev_b32_e32 v9, 2, v2
	ds_read_b32 v9, v9 offset:9216
	v_lshlrev_b32_e32 v8, 2, v8
	s_waitcnt lgkmcnt(0)
	v_lshrrev_b32_e32 v11, s80, v9
	v_and_b32_e32 v11, s88, v11
	v_lshlrev_b32_e32 v11, 3, v11
	ds_read_b64 v[12:13], v11
	v_xor_b32_e32 v11, 0x7fffffff, v9
	v_mov_b32_e32 v9, 0
	s_waitcnt lgkmcnt(0)
	v_lshl_add_u64 v[12:13], v[12:13], 2, s[70:71]
	v_lshl_add_u64 v[8:9], v[12:13], 0, v[8:9]
	global_store_dword v[8:9], v11, off
.LBB14_97:
	s_or_b64 exec, exec, s[50:51]
	v_or_b32_e32 v11, 0x800, v2
	v_cmp_gt_u32_e64 s[50:51], s86, v11
	s_and_saveexec_b64 s[52:53], s[50:51]
	s_cbranch_execz .LBB14_99
; %bb.98:
	v_lshlrev_b32_e32 v8, 2, v2
	ds_read_b32 v13, v8 offset:10240
	v_lshlrev_b32_e32 v12, 2, v11
	s_waitcnt lgkmcnt(0)
	v_lshrrev_b32_e32 v8, s80, v13
	v_and_b32_e32 v8, s88, v8
	v_lshlrev_b32_e32 v8, 3, v8
	ds_read_b64 v[8:9], v8
	v_xor_b32_e32 v15, 0x7fffffff, v13
	v_mov_b32_e32 v13, 0
	s_waitcnt lgkmcnt(0)
	v_lshl_add_u64 v[8:9], v[8:9], 2, s[70:71]
	v_lshl_add_u64 v[8:9], v[8:9], 0, v[12:13]
	global_store_dword v[8:9], v15, off
.LBB14_99:
	s_or_b64 exec, exec, s[52:53]
	v_add_u32_e32 v12, 0x900, v2
	v_cmp_gt_u32_e64 s[52:53], s86, v12
	s_and_saveexec_b64 s[54:55], s[52:53]
	s_cbranch_execz .LBB14_101
; %bb.100:
	v_lshlrev_b32_e32 v8, 2, v2
	ds_read_b32 v13, v8 offset:11264
	v_lshlrev_b32_e32 v16, 2, v12
	v_mov_b32_e32 v17, 0
	s_waitcnt lgkmcnt(0)
	v_lshrrev_b32_e32 v8, s80, v13
	v_and_b32_e32 v8, s88, v8
	v_lshlrev_b32_e32 v8, 3, v8
	ds_read_b64 v[8:9], v8
	v_xor_b32_e32 v13, 0x7fffffff, v13
	s_waitcnt lgkmcnt(0)
	v_lshl_add_u64 v[8:9], v[8:9], 2, s[70:71]
	v_lshl_add_u64 v[8:9], v[8:9], 0, v[16:17]
	global_store_dword v[8:9], v13, off
.LBB14_101:
	s_or_b64 exec, exec, s[54:55]
	v_add_u32_e32 v13, 0xa00, v2
	v_cmp_gt_u32_e64 s[54:55], s86, v13
	s_and_saveexec_b64 s[56:57], s[54:55]
	s_cbranch_execz .LBB14_103
; %bb.102:
	v_lshlrev_b32_e32 v8, 2, v2
	ds_read_b32 v15, v8 offset:12288
	v_lshlrev_b32_e32 v16, 2, v13
	v_mov_b32_e32 v17, 0
	s_waitcnt lgkmcnt(0)
	v_lshrrev_b32_e32 v8, s80, v15
	v_and_b32_e32 v8, s88, v8
	v_lshlrev_b32_e32 v8, 3, v8
	ds_read_b64 v[8:9], v8
	v_xor_b32_e32 v15, 0x7fffffff, v15
	s_waitcnt lgkmcnt(0)
	v_lshl_add_u64 v[8:9], v[8:9], 2, s[70:71]
	v_lshl_add_u64 v[8:9], v[8:9], 0, v[16:17]
	global_store_dword v[8:9], v15, off
.LBB14_103:
	s_or_b64 exec, exec, s[56:57]
	v_add_u32_e32 v15, 0xb00, v2
	v_cmp_gt_u32_e64 s[56:57], s86, v15
	s_and_saveexec_b64 s[58:59], s[56:57]
	s_cbranch_execz .LBB14_105
; %bb.104:
	v_lshlrev_b32_e32 v8, 2, v2
	ds_read_b32 v17, v8 offset:13312
	v_lshlrev_b32_e32 v16, 2, v15
	s_waitcnt lgkmcnt(0)
	v_lshrrev_b32_e32 v8, s80, v17
	v_and_b32_e32 v8, s88, v8
	v_lshlrev_b32_e32 v8, 3, v8
	ds_read_b64 v[8:9], v8
	v_xor_b32_e32 v18, 0x7fffffff, v17
	v_mov_b32_e32 v17, 0
	s_waitcnt lgkmcnt(0)
	v_lshl_add_u64 v[8:9], v[8:9], 2, s[70:71]
	v_lshl_add_u64 v[8:9], v[8:9], 0, v[16:17]
	global_store_dword v[8:9], v18, off
.LBB14_105:
	s_or_b64 exec, exec, s[58:59]
	v_or_b32_e32 v16, 0xc00, v2
	v_cmp_gt_u32_e64 s[58:59], s86, v16
	s_and_saveexec_b64 s[60:61], s[58:59]
	s_cbranch_execz .LBB14_107
; %bb.106:
	v_lshlrev_b32_e32 v8, 2, v2
	ds_read_b32 v17, v8 offset:14336
	v_lshlrev_b32_e32 v18, 2, v16
	v_mov_b32_e32 v19, 0
	s_waitcnt lgkmcnt(0)
	v_lshrrev_b32_e32 v8, s80, v17
	v_and_b32_e32 v8, s88, v8
	v_lshlrev_b32_e32 v8, 3, v8
	ds_read_b64 v[8:9], v8
	v_xor_b32_e32 v17, 0x7fffffff, v17
	s_waitcnt lgkmcnt(0)
	v_lshl_add_u64 v[8:9], v[8:9], 2, s[70:71]
	v_lshl_add_u64 v[8:9], v[8:9], 0, v[18:19]
	global_store_dword v[8:9], v17, off
.LBB14_107:
	s_or_b64 exec, exec, s[60:61]
	v_add_u32_e32 v17, 0xd00, v2
	v_cmp_gt_u32_e64 s[60:61], s86, v17
	s_and_saveexec_b64 s[62:63], s[60:61]
	s_cbranch_execz .LBB14_109
; %bb.108:
	v_lshlrev_b32_e32 v8, 2, v2
	ds_read_b32 v19, v8 offset:15360
	v_lshlrev_b32_e32 v18, 2, v17
	s_waitcnt lgkmcnt(0)
	v_lshrrev_b32_e32 v8, s80, v19
	v_and_b32_e32 v8, s88, v8
	v_lshlrev_b32_e32 v8, 3, v8
	ds_read_b64 v[8:9], v8
	v_xor_b32_e32 v20, 0x7fffffff, v19
	v_mov_b32_e32 v19, 0
	s_waitcnt lgkmcnt(0)
	v_lshl_add_u64 v[8:9], v[8:9], 2, s[70:71]
	v_lshl_add_u64 v[8:9], v[8:9], 0, v[18:19]
	global_store_dword v[8:9], v20, off
.LBB14_109:
	s_or_b64 exec, exec, s[62:63]
	v_add_u32_e32 v18, 0xe00, v2
	v_cmp_gt_u32_e64 s[62:63], s86, v18
	s_and_saveexec_b64 s[64:65], s[62:63]
	s_cbranch_execz .LBB14_111
; %bb.110:
	v_lshlrev_b32_e32 v8, 2, v2
	ds_read_b32 v19, v8 offset:16384
	v_lshlrev_b32_e32 v20, 2, v18
	v_mov_b32_e32 v21, 0
	s_waitcnt lgkmcnt(0)
	v_lshrrev_b32_e32 v8, s80, v19
	v_and_b32_e32 v8, s88, v8
	v_lshlrev_b32_e32 v8, 3, v8
	ds_read_b64 v[8:9], v8
	v_xor_b32_e32 v19, 0x7fffffff, v19
	s_waitcnt lgkmcnt(0)
	v_lshl_add_u64 v[8:9], v[8:9], 2, s[70:71]
	v_lshl_add_u64 v[8:9], v[8:9], 0, v[20:21]
	global_store_dword v[8:9], v19, off
.LBB14_111:
	s_or_b64 exec, exec, s[64:65]
	v_add_u32_e32 v19, 0xf00, v2
	v_cmp_gt_u32_e64 s[64:65], s86, v19
	s_and_saveexec_b64 s[86:87], s[64:65]
	s_cbranch_execz .LBB14_113
; %bb.112:
	v_lshlrev_b32_e32 v8, 2, v2
	ds_read_b32 v21, v8 offset:17408
	v_lshlrev_b32_e32 v20, 2, v19
	s_waitcnt lgkmcnt(0)
	v_lshrrev_b32_e32 v8, s80, v21
	v_and_b32_e32 v8, s88, v8
	v_lshlrev_b32_e32 v8, 3, v8
	ds_read_b64 v[8:9], v8
	v_xor_b32_e32 v22, 0x7fffffff, v21
	v_mov_b32_e32 v21, 0
	s_waitcnt lgkmcnt(0)
	v_lshl_add_u64 v[8:9], v[8:9], 2, s[70:71]
	v_lshl_add_u64 v[8:9], v[8:9], 0, v[20:21]
	global_store_dword v[8:9], v22, off
.LBB14_113:
	s_or_b64 exec, exec, s[86:87]
	s_lshl_b64 s[82:83], s[82:83], 1
	s_add_u32 s82, s72, s82
	s_addc_u32 s83, s73, s83
	v_lshlrev_b32_e32 v8, 1, v14
	v_mov_b32_e32 v9, 0
	v_lshl_add_u64 v[20:21], s[82:83], 0, v[8:9]
	v_lshlrev_b32_e32 v8, 1, v3
	v_lshl_add_u64 v[8:9], v[20:21], 0, v[8:9]
                                        ; implicit-def: $vgpr47
	s_and_saveexec_b64 s[82:83], vcc
	s_xor_b64 s[82:83], exec, s[82:83]
	s_cbranch_execz .LBB14_129
; %bb.114:
	global_load_ushort v47, v[8:9], off
	s_or_b64 exec, exec, s[82:83]
                                        ; implicit-def: $vgpr48
	s_and_saveexec_b64 s[82:83], s[66:67]
	s_cbranch_execnz .LBB14_130
.LBB14_115:
	s_or_b64 exec, exec, s[82:83]
                                        ; implicit-def: $vgpr49
	s_and_saveexec_b64 s[66:67], s[4:5]
	s_cbranch_execz .LBB14_131
.LBB14_116:
	global_load_ushort v49, v[8:9], off offset:256
	s_or_b64 exec, exec, s[66:67]
                                        ; implicit-def: $vgpr50
	s_and_saveexec_b64 s[4:5], s[6:7]
	s_cbranch_execnz .LBB14_132
.LBB14_117:
	s_or_b64 exec, exec, s[4:5]
                                        ; implicit-def: $vgpr51
	s_and_saveexec_b64 s[4:5], s[8:9]
	s_cbranch_execz .LBB14_133
.LBB14_118:
	global_load_ushort v51, v[8:9], off offset:512
	s_or_b64 exec, exec, s[4:5]
                                        ; implicit-def: $vgpr52
	s_and_saveexec_b64 s[4:5], s[10:11]
	s_cbranch_execnz .LBB14_134
.LBB14_119:
	s_or_b64 exec, exec, s[4:5]
                                        ; implicit-def: $vgpr53
	s_and_saveexec_b64 s[4:5], s[12:13]
	s_cbranch_execz .LBB14_135
.LBB14_120:
	global_load_ushort v53, v[8:9], off offset:768
	s_or_b64 exec, exec, s[4:5]
                                        ; implicit-def: $vgpr54
	s_and_saveexec_b64 s[4:5], s[14:15]
	s_cbranch_execnz .LBB14_136
.LBB14_121:
	s_or_b64 exec, exec, s[4:5]
                                        ; implicit-def: $vgpr55
	s_and_saveexec_b64 s[4:5], s[16:17]
	s_cbranch_execz .LBB14_137
.LBB14_122:
	global_load_ushort v55, v[8:9], off offset:1024
	s_or_b64 exec, exec, s[4:5]
                                        ; implicit-def: $vgpr56
	s_and_saveexec_b64 s[4:5], s[18:19]
	s_cbranch_execnz .LBB14_138
.LBB14_123:
	s_or_b64 exec, exec, s[4:5]
                                        ; implicit-def: $vgpr57
	s_and_saveexec_b64 s[4:5], s[20:21]
	s_cbranch_execz .LBB14_139
.LBB14_124:
	global_load_ushort v57, v[8:9], off offset:1280
	s_or_b64 exec, exec, s[4:5]
                                        ; implicit-def: $vgpr58
	s_and_saveexec_b64 s[4:5], s[22:23]
	s_cbranch_execnz .LBB14_140
.LBB14_125:
	s_or_b64 exec, exec, s[4:5]
                                        ; implicit-def: $vgpr59
	s_and_saveexec_b64 s[4:5], s[24:25]
	s_cbranch_execz .LBB14_141
.LBB14_126:
	global_load_ushort v59, v[8:9], off offset:1536
	s_or_b64 exec, exec, s[4:5]
                                        ; implicit-def: $vgpr60
	s_and_saveexec_b64 s[4:5], s[26:27]
	s_cbranch_execnz .LBB14_142
.LBB14_127:
	s_or_b64 exec, exec, s[4:5]
                                        ; implicit-def: $vgpr61
	s_and_saveexec_b64 s[4:5], s[28:29]
	s_cbranch_execz .LBB14_143
.LBB14_128:
	global_load_ushort v61, v[8:9], off offset:1792
	s_or_b64 exec, exec, s[4:5]
                                        ; implicit-def: $vgpr62
	s_and_saveexec_b64 s[4:5], s[30:31]
	s_cbranch_execnz .LBB14_144
	s_branch .LBB14_145
.LBB14_129:
	s_or_b64 exec, exec, s[82:83]
                                        ; implicit-def: $vgpr48
	s_and_saveexec_b64 s[82:83], s[66:67]
	s_cbranch_execz .LBB14_115
.LBB14_130:
	global_load_ushort v48, v[8:9], off offset:128
	s_or_b64 exec, exec, s[82:83]
                                        ; implicit-def: $vgpr49
	s_and_saveexec_b64 s[66:67], s[4:5]
	s_cbranch_execnz .LBB14_116
.LBB14_131:
	s_or_b64 exec, exec, s[66:67]
                                        ; implicit-def: $vgpr50
	s_and_saveexec_b64 s[4:5], s[6:7]
	s_cbranch_execz .LBB14_117
.LBB14_132:
	global_load_ushort v50, v[8:9], off offset:384
	s_or_b64 exec, exec, s[4:5]
                                        ; implicit-def: $vgpr51
	s_and_saveexec_b64 s[4:5], s[8:9]
	s_cbranch_execnz .LBB14_118
.LBB14_133:
	s_or_b64 exec, exec, s[4:5]
                                        ; implicit-def: $vgpr52
	s_and_saveexec_b64 s[4:5], s[10:11]
	s_cbranch_execz .LBB14_119
.LBB14_134:
	global_load_ushort v52, v[8:9], off offset:640
	s_or_b64 exec, exec, s[4:5]
                                        ; implicit-def: $vgpr53
	s_and_saveexec_b64 s[4:5], s[12:13]
	s_cbranch_execnz .LBB14_120
.LBB14_135:
	s_or_b64 exec, exec, s[4:5]
                                        ; implicit-def: $vgpr54
	s_and_saveexec_b64 s[4:5], s[14:15]
	s_cbranch_execz .LBB14_121
.LBB14_136:
	global_load_ushort v54, v[8:9], off offset:896
	s_or_b64 exec, exec, s[4:5]
                                        ; implicit-def: $vgpr55
	s_and_saveexec_b64 s[4:5], s[16:17]
	s_cbranch_execnz .LBB14_122
.LBB14_137:
	s_or_b64 exec, exec, s[4:5]
                                        ; implicit-def: $vgpr56
	s_and_saveexec_b64 s[4:5], s[18:19]
	s_cbranch_execz .LBB14_123
.LBB14_138:
	global_load_ushort v56, v[8:9], off offset:1152
	s_or_b64 exec, exec, s[4:5]
                                        ; implicit-def: $vgpr57
	s_and_saveexec_b64 s[4:5], s[20:21]
	s_cbranch_execnz .LBB14_124
.LBB14_139:
	s_or_b64 exec, exec, s[4:5]
                                        ; implicit-def: $vgpr58
	s_and_saveexec_b64 s[4:5], s[22:23]
	s_cbranch_execz .LBB14_125
.LBB14_140:
	global_load_ushort v58, v[8:9], off offset:1408
	s_or_b64 exec, exec, s[4:5]
                                        ; implicit-def: $vgpr59
	s_and_saveexec_b64 s[4:5], s[24:25]
	s_cbranch_execnz .LBB14_126
.LBB14_141:
	s_or_b64 exec, exec, s[4:5]
                                        ; implicit-def: $vgpr60
	s_and_saveexec_b64 s[4:5], s[26:27]
	s_cbranch_execz .LBB14_127
.LBB14_142:
	global_load_ushort v60, v[8:9], off offset:1664
	s_or_b64 exec, exec, s[4:5]
                                        ; implicit-def: $vgpr61
	s_and_saveexec_b64 s[4:5], s[28:29]
	s_cbranch_execnz .LBB14_128
.LBB14_143:
	s_or_b64 exec, exec, s[4:5]
                                        ; implicit-def: $vgpr62
	s_and_saveexec_b64 s[4:5], s[30:31]
	s_cbranch_execz .LBB14_145
.LBB14_144:
	global_load_ushort v62, v[8:9], off offset:1920
.LBB14_145:
	s_or_b64 exec, exec, s[4:5]
	v_mov_b32_e32 v41, 0
	v_mov_b32_e32 v46, 0
	s_and_saveexec_b64 s[4:5], s[34:35]
	s_cbranch_execz .LBB14_147
; %bb.146:
	v_lshlrev_b32_e32 v3, 2, v2
	ds_read_b32 v3, v3 offset:2048
	s_waitcnt lgkmcnt(0)
	v_lshrrev_b32_e32 v3, s80, v3
	v_and_b32_e32 v46, s88, v3
.LBB14_147:
	s_or_b64 exec, exec, s[4:5]
	s_and_saveexec_b64 s[4:5], s[36:37]
	s_cbranch_execz .LBB14_149
; %bb.148:
	v_lshlrev_b32_e32 v3, 2, v2
	ds_read_b32 v3, v3 offset:3072
	s_waitcnt lgkmcnt(0)
	v_lshrrev_b32_e32 v3, s80, v3
	v_and_b32_e32 v41, s88, v3
.LBB14_149:
	s_or_b64 exec, exec, s[4:5]
	v_mov_b32_e32 v38, 0
	v_mov_b32_e32 v44, 0
	s_and_saveexec_b64 s[4:5], s[38:39]
	s_cbranch_execz .LBB14_151
; %bb.150:
	v_lshlrev_b32_e32 v3, 2, v2
	ds_read_b32 v3, v3 offset:4096
	s_waitcnt lgkmcnt(0)
	v_lshrrev_b32_e32 v3, s80, v3
	v_and_b32_e32 v44, s88, v3
.LBB14_151:
	s_or_b64 exec, exec, s[4:5]
	s_and_saveexec_b64 s[4:5], s[40:41]
	s_cbranch_execz .LBB14_153
; %bb.152:
	v_lshlrev_b32_e32 v3, 2, v2
	ds_read_b32 v3, v3 offset:5120
	s_waitcnt lgkmcnt(0)
	v_lshrrev_b32_e32 v3, s80, v3
	v_and_b32_e32 v38, s88, v3
.LBB14_153:
	;; [unrolled: 22-line block ×8, first 2 shown]
	s_or_b64 exec, exec, s[4:5]
	v_lshlrev_b32_e32 v45, 1, v45
	v_lshlrev_b32_e32 v42, 1, v42
	;; [unrolled: 1-line block ×16, first 2 shown]
	s_barrier
	s_waitcnt vmcnt(0)
	ds_write_b16 v45, v47 offset:2048
	ds_write_b16 v42, v48 offset:2048
	;; [unrolled: 1-line block ×16, first 2 shown]
	s_waitcnt lgkmcnt(0)
	s_barrier
	s_and_saveexec_b64 s[4:5], s[34:35]
	s_cbranch_execz .LBB14_248
; %bb.178:
	v_lshlrev_b32_e32 v7, 3, v46
	ds_read_b64 v[26:27], v7
	v_lshlrev_b32_e32 v28, 1, v2
	ds_read_u16 v7, v28 offset:2048
	v_mov_b32_e32 v29, 0
	s_waitcnt lgkmcnt(1)
	v_lshl_add_u64 v[26:27], v[26:27], 1, s[74:75]
	v_lshl_add_u64 v[26:27], v[26:27], 0, v[28:29]
	s_waitcnt lgkmcnt(0)
	global_store_short v[26:27], v7, off
	s_or_b64 exec, exec, s[4:5]
	s_and_saveexec_b64 s[4:5], s[36:37]
	s_cbranch_execnz .LBB14_249
.LBB14_179:
	s_or_b64 exec, exec, s[4:5]
	s_and_saveexec_b64 s[4:5], s[38:39]
	s_cbranch_execz .LBB14_250
.LBB14_180:
	v_lshlrev_b32_e32 v7, 3, v44
	ds_read_b64 v[26:27], v7
	v_lshlrev_b32_e32 v28, 1, v2
	ds_read_u16 v7, v28 offset:3072
	v_mov_b32_e32 v29, 0
	s_waitcnt lgkmcnt(1)
	v_lshl_add_u64 v[26:27], v[26:27], 1, s[74:75]
	v_lshl_add_u64 v[26:27], v[26:27], 0, v[28:29]
	s_waitcnt lgkmcnt(0)
	global_store_short v[26:27], v7, off offset:1024
	s_or_b64 exec, exec, s[4:5]
	s_and_saveexec_b64 s[4:5], s[40:41]
	s_cbranch_execnz .LBB14_251
.LBB14_181:
	s_or_b64 exec, exec, s[4:5]
	s_and_saveexec_b64 s[4:5], s[42:43]
	s_cbranch_execz .LBB14_252
.LBB14_182:
	v_lshlrev_b32_e32 v7, 3, v43
	ds_read_b64 v[26:27], v7
	v_lshlrev_b32_e32 v28, 1, v2
	ds_read_u16 v7, v28 offset:4096
	v_mov_b32_e32 v29, 0
	s_waitcnt lgkmcnt(1)
	v_lshl_add_u64 v[26:27], v[26:27], 1, s[74:75]
	v_lshl_add_u64 v[26:27], v[26:27], 0, v[28:29]
	s_waitcnt lgkmcnt(0)
	global_store_short v[26:27], v7, off offset:2048
	s_or_b64 exec, exec, s[4:5]
	s_and_saveexec_b64 s[4:5], s[44:45]
	s_cbranch_execnz .LBB14_253
.LBB14_183:
	s_or_b64 exec, exec, s[4:5]
	s_and_saveexec_b64 s[4:5], s[46:47]
	s_cbranch_execz .LBB14_254
.LBB14_184:
	v_lshlrev_b32_e32 v7, 3, v40
	ds_read_b64 v[24:25], v7
	v_lshlrev_b32_e32 v26, 1, v2
	ds_read_u16 v7, v26 offset:5120
	v_mov_b32_e32 v27, 0
	s_waitcnt lgkmcnt(1)
	v_lshl_add_u64 v[24:25], v[24:25], 1, s[74:75]
	v_lshl_add_u64 v[24:25], v[24:25], 0, v[26:27]
	s_waitcnt lgkmcnt(0)
	global_store_short v[24:25], v7, off offset:3072
	s_or_b64 exec, exec, s[4:5]
	s_and_saveexec_b64 s[4:5], s[48:49]
	s_cbranch_execnz .LBB14_255
.LBB14_185:
	s_or_b64 exec, exec, s[4:5]
	s_and_saveexec_b64 s[4:5], s[50:51]
	s_cbranch_execz .LBB14_256
.LBB14_186:
	v_lshlrev_b32_e32 v7, 3, v37
	ds_read_b64 v[24:25], v7
	v_lshlrev_b32_e32 v7, 1, v2
	ds_read_u16 v7, v7 offset:6144
	v_lshlrev_b32_e32 v26, 1, v11
	v_mov_b32_e32 v27, 0
	s_waitcnt lgkmcnt(1)
	v_lshl_add_u64 v[24:25], v[24:25], 1, s[74:75]
	v_lshl_add_u64 v[24:25], v[24:25], 0, v[26:27]
	s_waitcnt lgkmcnt(0)
	global_store_short v[24:25], v7, off
	s_or_b64 exec, exec, s[4:5]
	s_and_saveexec_b64 s[4:5], s[52:53]
	s_cbranch_execnz .LBB14_257
.LBB14_187:
	s_or_b64 exec, exec, s[4:5]
	s_and_saveexec_b64 s[4:5], s[54:55]
	s_cbranch_execz .LBB14_258
.LBB14_188:
	v_lshlrev_b32_e32 v7, 3, v22
	ds_read_b64 v[22:23], v7
	v_lshlrev_b32_e32 v7, 1, v2
	ds_read_u16 v7, v7 offset:7168
	v_lshlrev_b32_e32 v12, 1, v13
	v_mov_b32_e32 v13, 0
	s_waitcnt lgkmcnt(1)
	v_lshl_add_u64 v[22:23], v[22:23], 1, s[74:75]
	v_lshl_add_u64 v[12:13], v[22:23], 0, v[12:13]
	s_waitcnt lgkmcnt(0)
	global_store_short v[12:13], v7, off
	s_or_b64 exec, exec, s[4:5]
	s_and_saveexec_b64 s[4:5], s[56:57]
	s_cbranch_execnz .LBB14_259
.LBB14_189:
	s_or_b64 exec, exec, s[4:5]
	s_and_saveexec_b64 s[4:5], s[58:59]
	s_cbranch_execz .LBB14_260
.LBB14_190:
	v_lshlrev_b32_e32 v7, 3, v20
	ds_read_b64 v[12:13], v7
	v_lshlrev_b32_e32 v7, 1, v2
	ds_read_u16 v7, v7 offset:8192
	v_lshlrev_b32_e32 v14, 1, v16
	v_mov_b32_e32 v15, 0
	s_waitcnt lgkmcnt(1)
	v_lshl_add_u64 v[12:13], v[12:13], 1, s[74:75]
	v_lshl_add_u64 v[12:13], v[12:13], 0, v[14:15]
	s_waitcnt lgkmcnt(0)
	global_store_short v[12:13], v7, off
	s_or_b64 exec, exec, s[4:5]
	s_and_saveexec_b64 s[4:5], s[60:61]
	s_cbranch_execnz .LBB14_261
.LBB14_191:
	s_or_b64 exec, exec, s[4:5]
	s_and_saveexec_b64 s[4:5], s[62:63]
	s_cbranch_execz .LBB14_262
.LBB14_192:
	v_lshlrev_b32_e32 v7, 3, v9
	ds_read_b64 v[8:9], v7
	v_lshlrev_b32_e32 v7, 1, v2
	ds_read_u16 v7, v7 offset:9216
	v_lshlrev_b32_e32 v12, 1, v18
	v_mov_b32_e32 v13, 0
	s_waitcnt lgkmcnt(1)
	v_lshl_add_u64 v[8:9], v[8:9], 1, s[74:75]
	v_lshl_add_u64 v[8:9], v[8:9], 0, v[12:13]
	s_waitcnt lgkmcnt(0)
	global_store_short v[8:9], v7, off
	s_or_b64 exec, exec, s[4:5]
	s_and_saveexec_b64 s[4:5], s[64:65]
	s_cbranch_execnz .LBB14_263
.LBB14_193:
	s_or_b64 exec, exec, s[4:5]
	s_add_i32 s33, s33, -1
	s_cmp_eq_u32 s2, s33
	s_cbranch_scc0 .LBB14_195
.LBB14_194:
	ds_read_b64 v[2:3], v10
	v_mov_b32_e32 v7, 0
	v_lshl_add_u64 v[4:5], v[6:7], 0, v[4:5]
	s_waitcnt lgkmcnt(0)
	v_lshl_add_u64 v[2:3], v[4:5], 0, v[2:3]
	global_store_dwordx2 v10, v[2:3], s[78:79]
.LBB14_195:
	s_mov_b64 s[4:5], 0
.LBB14_196:
	s_and_b64 vcc, exec, s[4:5]
	s_cbranch_vccz .LBB14_247
; %bb.197:
	s_lshl_b32 s8, s2, 12
	s_mov_b32 s9, 0
	v_and_b32_e32 v2, 0x3ff, v0
	s_lshl_b64 s[4:5], s[8:9], 2
	s_add_u32 s4, s68, s4
	v_mbcnt_hi_u32_b32 v14, -1, v1
	v_lshlrev_b32_e32 v1, 4, v2
	s_addc_u32 s5, s69, s5
	v_and_b32_e32 v3, 0xc00, v1
	v_mov_b32_e32 v5, 0
	v_lshlrev_b32_e32 v4, 2, v14
	v_lshl_add_u64 v[6:7], s[4:5], 0, v[4:5]
	v_lshlrev_b32_e32 v4, 2, v3
	v_lshl_add_u64 v[8:9], v[6:7], 0, v[4:5]
	global_load_dword v1, v[8:9], off
	s_load_dword s4, s[0:1], 0x5c
	s_load_dword s10, s[0:1], 0x50
	s_add_u32 s0, s0, 0x50
	s_addc_u32 s1, s1, 0
	v_mul_u32_u24_e32 v7, 20, v2
	s_waitcnt lgkmcnt(0)
	s_lshr_b32 s4, s4, 16
	s_cmp_lt_u32 s2, s10
	s_cselect_b32 s5, 12, 18
	s_add_u32 s0, s0, s5
	s_addc_u32 s1, s1, 0
	global_load_ushort v11, v5, s[0:1]
	ds_write2_b32 v7, v5, v5 offset0:4 offset1:5
	ds_write2_b32 v7, v5, v5 offset0:6 offset1:7
	ds_write_b32 v7, v5 offset:32
	global_load_dword v10, v[8:9], off offset:256
	global_load_dword v15, v[8:9], off offset:512
	;; [unrolled: 1-line block ×15, first 2 shown]
	v_bfe_u32 v4, v0, 10, 10
	v_bfe_u32 v13, v0, 20, 10
	s_lshl_b32 s0, -1, s81
	v_mad_u32_u24 v9, v13, s4, v4
	v_mov_b32_e32 v0, v5
	s_not_b32 s11, s0
	v_mov_b32_e32 v12, v5
	v_mov_b32_e32 v16, v5
	;; [unrolled: 1-line block ×3, first 2 shown]
	s_waitcnt lgkmcnt(0)
	s_barrier
	s_waitcnt vmcnt(16)
	; wave barrier
	v_xor_b32_e32 v8, 0x7fffffff, v1
	v_lshrrev_b32_e32 v1, s80, v8
	v_bitop3_b32 v21, v1, s0, v1 bitop3:0x30
	v_and_b32_e32 v4, 1, v21
	v_lshlrev_b32_e32 v1, 30, v21
	v_lshlrev_b32_e32 v13, 29, v21
	v_lshl_add_u64 v[26:27], v[4:5], 0, -1
	v_cmp_ne_u32_e32 vcc, 0, v4
	v_lshlrev_b32_e32 v17, 28, v21
	v_cmp_gt_i64_e64 s[4:5], 0, v[12:13]
	s_waitcnt vmcnt(15)
	v_mad_u64_u32 v[18:19], s[0:1], v9, v11, v[2:3]
	v_cmp_gt_i64_e64 s[0:1], 0, v[0:1]
	v_not_b32_e32 v0, v1
	v_not_b32_e32 v1, v13
	v_xor_b32_e32 v12, vcc_lo, v26
	v_ashrrev_i32_e32 v0, 31, v0
	v_not_b32_e32 v4, v17
	v_ashrrev_i32_e32 v1, 31, v1
	v_and_b32_e32 v12, exec_lo, v12
	v_xor_b32_e32 v13, s1, v0
	v_xor_b32_e32 v0, s0, v0
	v_cmp_gt_i64_e64 s[6:7], 0, v[16:17]
	v_xor_b32_e32 v11, vcc_hi, v27
	v_ashrrev_i32_e32 v4, 31, v4
	v_xor_b32_e32 v16, s5, v1
	v_xor_b32_e32 v1, s4, v1
	v_and_b32_e32 v0, v12, v0
	v_lshlrev_b32_e32 v23, 27, v21
	v_and_b32_e32 v11, exec_hi, v11
	v_xor_b32_e32 v17, s7, v4
	v_xor_b32_e32 v4, s6, v4
	v_and_b32_e32 v0, v0, v1
	v_and_b32_e32 v11, v11, v13
	;; [unrolled: 1-line block ×3, first 2 shown]
	v_not_b32_e32 v4, v23
	v_and_b32_e32 v11, v11, v16
	v_cmp_gt_i64_e32 vcc, 0, v[22:23]
	v_ashrrev_i32_e32 v4, 31, v4
	v_and_b32_e32 v1, v11, v17
	v_xor_b32_e32 v11, vcc_hi, v4
	v_xor_b32_e32 v4, vcc_lo, v4
	v_and_b32_e32 v11, v1, v11
	v_and_b32_e32 v4, v0, v4
	v_lshlrev_b32_e32 v1, 26, v21
	v_mov_b32_e32 v0, v5
	v_cmp_gt_i64_e32 vcc, 0, v[0:1]
	v_not_b32_e32 v0, v1
	v_ashrrev_i32_e32 v0, 31, v0
	v_xor_b32_e32 v1, vcc_hi, v0
	v_xor_b32_e32 v0, vcc_lo, v0
	v_and_b32_e32 v11, v11, v1
	v_and_b32_e32 v4, v4, v0
	v_lshlrev_b32_e32 v1, 25, v21
	v_mov_b32_e32 v0, v5
	v_cmp_gt_i64_e32 vcc, 0, v[0:1]
	v_not_b32_e32 v0, v1
	v_ashrrev_i32_e32 v0, 31, v0
	v_xor_b32_e32 v1, vcc_hi, v0
	v_xor_b32_e32 v0, vcc_lo, v0
	v_and_b32_e32 v11, v11, v1
	v_and_b32_e32 v4, v4, v0
	v_lshlrev_b32_e32 v1, 24, v21
	v_mov_b32_e32 v0, v5
	v_cmp_gt_i64_e32 vcc, 0, v[0:1]
	v_not_b32_e32 v0, v1
	v_ashrrev_i32_e32 v0, 31, v0
	v_xor_b32_e32 v1, vcc_hi, v0
	v_xor_b32_e32 v0, vcc_lo, v0
	v_and_b32_e32 v0, v4, v0
	v_and_b32_e32 v1, v11, v1
	v_mbcnt_lo_u32_b32 v4, v0, 0
	v_mbcnt_hi_u32_b32 v11, v1, v4
	v_mul_lo_u32 v28, v21, 20
	v_lshrrev_b32_e32 v19, 6, v18
	v_cmp_eq_u32_e32 vcc, 0, v11
	v_cmp_ne_u64_e64 s[0:1], 0, v[0:1]
	v_lshl_add_u32 v9, v19, 2, v28
	s_and_b64 s[4:5], s[0:1], vcc
	s_and_saveexec_b64 s[0:1], s[4:5]
; %bb.198:
	v_bcnt_u32_b32 v0, v0, 0
	v_bcnt_u32_b32 v0, v1, v0
	ds_write_b32 v9, v0 offset:16
; %bb.199:
	s_or_b64 exec, exec, s[0:1]
	s_waitcnt vmcnt(14)
	v_xor_b32_e32 v10, 0x7fffffff, v10
	v_lshrrev_b32_e32 v0, s80, v10
	v_and_b32_e32 v16, s11, v0
	v_mul_lo_u32 v0, v16, 20
	v_and_b32_e32 v4, 1, v16
	v_lshl_add_u32 v13, v19, 2, v0
	v_lshl_add_u64 v[0:1], v[4:5], 0, -1
	v_cmp_ne_u32_e32 vcc, 0, v4
	; wave barrier
	s_nop 1
	v_xor_b32_e32 v1, vcc_hi, v1
	v_xor_b32_e32 v0, vcc_lo, v0
	v_and_b32_e32 v4, exec_hi, v1
	v_and_b32_e32 v17, exec_lo, v0
	v_lshlrev_b32_e32 v1, 30, v16
	v_mov_b32_e32 v0, v5
	v_cmp_gt_i64_e32 vcc, 0, v[0:1]
	v_not_b32_e32 v0, v1
	v_ashrrev_i32_e32 v0, 31, v0
	v_xor_b32_e32 v1, vcc_hi, v0
	v_xor_b32_e32 v0, vcc_lo, v0
	v_and_b32_e32 v4, v4, v1
	v_and_b32_e32 v17, v17, v0
	v_lshlrev_b32_e32 v1, 29, v16
	v_mov_b32_e32 v0, v5
	v_cmp_gt_i64_e32 vcc, 0, v[0:1]
	v_not_b32_e32 v0, v1
	v_ashrrev_i32_e32 v0, 31, v0
	v_xor_b32_e32 v1, vcc_hi, v0
	v_xor_b32_e32 v0, vcc_lo, v0
	v_and_b32_e32 v4, v4, v1
	v_and_b32_e32 v17, v17, v0
	;; [unrolled: 9-line block ×6, first 2 shown]
	v_lshlrev_b32_e32 v1, 24, v16
	v_mov_b32_e32 v0, v5
	v_cmp_gt_i64_e32 vcc, 0, v[0:1]
	v_not_b32_e32 v0, v1
	v_ashrrev_i32_e32 v0, 31, v0
	v_xor_b32_e32 v1, vcc_hi, v0
	v_xor_b32_e32 v0, vcc_lo, v0
	ds_read_b32 v12, v13 offset:16
	v_and_b32_e32 v0, v17, v0
	v_and_b32_e32 v1, v4, v1
	v_mbcnt_lo_u32_b32 v4, v0, 0
	v_mbcnt_hi_u32_b32 v16, v1, v4
	v_cmp_eq_u32_e32 vcc, 0, v16
	v_cmp_ne_u64_e64 s[0:1], 0, v[0:1]
	s_and_b64 s[4:5], s[0:1], vcc
	; wave barrier
	s_and_saveexec_b64 s[0:1], s[4:5]
	s_cbranch_execz .LBB14_201
; %bb.200:
	v_bcnt_u32_b32 v0, v0, 0
	v_bcnt_u32_b32 v0, v1, v0
	s_waitcnt lgkmcnt(0)
	v_add_u32_e32 v0, v12, v0
	ds_write_b32 v13, v0 offset:16
.LBB14_201:
	s_or_b64 exec, exec, s[0:1]
	s_waitcnt vmcnt(13)
	v_xor_b32_e32 v15, 0x7fffffff, v15
	v_lshrrev_b32_e32 v0, s80, v15
	v_and_b32_e32 v21, s11, v0
	v_mul_lo_u32 v0, v21, 20
	v_lshl_add_u32 v18, v19, 2, v0
	v_and_b32_e32 v0, 1, v21
	v_mov_b32_e32 v1, 0
	v_lshl_add_u64 v[4:5], v[0:1], 0, -1
	v_cmp_ne_u32_e32 vcc, 0, v0
	; wave barrier
	s_nop 1
	v_xor_b32_e32 v4, vcc_lo, v4
	v_xor_b32_e32 v0, vcc_hi, v5
	v_and_b32_e32 v22, exec_lo, v4
	v_lshlrev_b32_e32 v5, 30, v21
	v_mov_b32_e32 v4, v1
	v_cmp_gt_i64_e32 vcc, 0, v[4:5]
	v_not_b32_e32 v4, v5
	v_ashrrev_i32_e32 v4, 31, v4
	v_and_b32_e32 v0, exec_hi, v0
	v_xor_b32_e32 v5, vcc_hi, v4
	v_xor_b32_e32 v4, vcc_lo, v4
	v_and_b32_e32 v0, v0, v5
	v_and_b32_e32 v22, v22, v4
	v_lshlrev_b32_e32 v5, 29, v21
	v_mov_b32_e32 v4, v1
	v_cmp_gt_i64_e32 vcc, 0, v[4:5]
	v_not_b32_e32 v4, v5
	v_ashrrev_i32_e32 v4, 31, v4
	v_xor_b32_e32 v5, vcc_hi, v4
	v_xor_b32_e32 v4, vcc_lo, v4
	v_and_b32_e32 v0, v0, v5
	v_and_b32_e32 v22, v22, v4
	v_lshlrev_b32_e32 v5, 28, v21
	v_mov_b32_e32 v4, v1
	v_cmp_gt_i64_e32 vcc, 0, v[4:5]
	v_not_b32_e32 v4, v5
	v_ashrrev_i32_e32 v4, 31, v4
	;; [unrolled: 9-line block ×6, first 2 shown]
	v_xor_b32_e32 v5, vcc_hi, v4
	v_xor_b32_e32 v4, vcc_lo, v4
	ds_read_b32 v17, v18 offset:16
	v_and_b32_e32 v4, v22, v4
	v_and_b32_e32 v5, v0, v5
	v_mbcnt_lo_u32_b32 v0, v4, 0
	v_mbcnt_hi_u32_b32 v21, v5, v0
	v_cmp_eq_u32_e32 vcc, 0, v21
	v_cmp_ne_u64_e64 s[0:1], 0, v[4:5]
	s_and_b64 s[4:5], s[0:1], vcc
	; wave barrier
	s_and_saveexec_b64 s[0:1], s[4:5]
	s_cbranch_execz .LBB14_203
; %bb.202:
	v_bcnt_u32_b32 v0, v4, 0
	v_bcnt_u32_b32 v0, v5, v0
	s_waitcnt lgkmcnt(0)
	v_add_u32_e32 v0, v17, v0
	ds_write_b32 v18, v0 offset:16
.LBB14_203:
	s_or_b64 exec, exec, s[0:1]
	s_waitcnt vmcnt(12)
	v_xor_b32_e32 v20, 0x7fffffff, v20
	v_lshrrev_b32_e32 v0, s80, v20
	v_and_b32_e32 v26, s11, v0
	v_mul_lo_u32 v0, v26, 20
	v_lshl_add_u32 v23, v19, 2, v0
	v_and_b32_e32 v0, 1, v26
	v_lshl_add_u64 v[4:5], v[0:1], 0, -1
	v_cmp_ne_u32_e32 vcc, 0, v0
	; wave barrier
	s_nop 1
	v_xor_b32_e32 v4, vcc_lo, v4
	v_xor_b32_e32 v0, vcc_hi, v5
	v_and_b32_e32 v27, exec_lo, v4
	v_lshlrev_b32_e32 v5, 30, v26
	v_mov_b32_e32 v4, v1
	v_cmp_gt_i64_e32 vcc, 0, v[4:5]
	v_not_b32_e32 v4, v5
	v_ashrrev_i32_e32 v4, 31, v4
	v_and_b32_e32 v0, exec_hi, v0
	v_xor_b32_e32 v5, vcc_hi, v4
	v_xor_b32_e32 v4, vcc_lo, v4
	v_and_b32_e32 v0, v0, v5
	v_and_b32_e32 v27, v27, v4
	v_lshlrev_b32_e32 v5, 29, v26
	v_mov_b32_e32 v4, v1
	v_cmp_gt_i64_e32 vcc, 0, v[4:5]
	v_not_b32_e32 v4, v5
	v_ashrrev_i32_e32 v4, 31, v4
	v_xor_b32_e32 v5, vcc_hi, v4
	v_xor_b32_e32 v4, vcc_lo, v4
	v_and_b32_e32 v0, v0, v5
	v_and_b32_e32 v27, v27, v4
	v_lshlrev_b32_e32 v5, 28, v26
	v_mov_b32_e32 v4, v1
	v_cmp_gt_i64_e32 vcc, 0, v[4:5]
	v_not_b32_e32 v4, v5
	v_ashrrev_i32_e32 v4, 31, v4
	;; [unrolled: 9-line block ×5, first 2 shown]
	v_xor_b32_e32 v5, vcc_hi, v4
	v_xor_b32_e32 v4, vcc_lo, v4
	v_and_b32_e32 v0, v0, v5
	v_lshlrev_b32_e32 v5, 24, v26
	v_and_b32_e32 v27, v27, v4
	v_mov_b32_e32 v4, v1
	v_not_b32_e32 v1, v5
	v_cmp_gt_i64_e32 vcc, 0, v[4:5]
	v_ashrrev_i32_e32 v1, 31, v1
	ds_read_b32 v22, v23 offset:16
	v_xor_b32_e32 v4, vcc_hi, v1
	v_xor_b32_e32 v5, vcc_lo, v1
	v_and_b32_e32 v1, v0, v4
	v_and_b32_e32 v0, v27, v5
	v_mbcnt_lo_u32_b32 v4, v0, 0
	v_mbcnt_hi_u32_b32 v26, v1, v4
	v_cmp_eq_u32_e32 vcc, 0, v26
	v_cmp_ne_u64_e64 s[0:1], 0, v[0:1]
	s_and_b64 s[4:5], s[0:1], vcc
	; wave barrier
	s_and_saveexec_b64 s[0:1], s[4:5]
	s_cbranch_execz .LBB14_205
; %bb.204:
	v_bcnt_u32_b32 v0, v0, 0
	v_bcnt_u32_b32 v0, v1, v0
	s_waitcnt lgkmcnt(0)
	v_add_u32_e32 v0, v22, v0
	ds_write_b32 v23, v0 offset:16
.LBB14_205:
	s_or_b64 exec, exec, s[0:1]
	s_waitcnt vmcnt(11)
	v_xor_b32_e32 v25, 0x7fffffff, v25
	v_lshrrev_b32_e32 v0, s80, v25
	v_and_b32_e32 v31, s11, v0
	v_mul_lo_u32 v0, v31, 20
	v_lshl_add_u32 v28, v19, 2, v0
	v_and_b32_e32 v0, 1, v31
	v_mov_b32_e32 v1, 0
	v_lshl_add_u64 v[4:5], v[0:1], 0, -1
	v_cmp_ne_u32_e32 vcc, 0, v0
	; wave barrier
	s_nop 1
	v_xor_b32_e32 v4, vcc_lo, v4
	v_xor_b32_e32 v0, vcc_hi, v5
	v_and_b32_e32 v32, exec_lo, v4
	v_lshlrev_b32_e32 v5, 30, v31
	v_mov_b32_e32 v4, v1
	v_cmp_gt_i64_e32 vcc, 0, v[4:5]
	v_not_b32_e32 v4, v5
	v_ashrrev_i32_e32 v4, 31, v4
	v_and_b32_e32 v0, exec_hi, v0
	v_xor_b32_e32 v5, vcc_hi, v4
	v_xor_b32_e32 v4, vcc_lo, v4
	v_and_b32_e32 v0, v0, v5
	v_and_b32_e32 v32, v32, v4
	v_lshlrev_b32_e32 v5, 29, v31
	v_mov_b32_e32 v4, v1
	v_cmp_gt_i64_e32 vcc, 0, v[4:5]
	v_not_b32_e32 v4, v5
	v_ashrrev_i32_e32 v4, 31, v4
	v_xor_b32_e32 v5, vcc_hi, v4
	v_xor_b32_e32 v4, vcc_lo, v4
	v_and_b32_e32 v0, v0, v5
	v_and_b32_e32 v32, v32, v4
	v_lshlrev_b32_e32 v5, 28, v31
	v_mov_b32_e32 v4, v1
	v_cmp_gt_i64_e32 vcc, 0, v[4:5]
	v_not_b32_e32 v4, v5
	v_ashrrev_i32_e32 v4, 31, v4
	;; [unrolled: 9-line block ×6, first 2 shown]
	v_xor_b32_e32 v5, vcc_hi, v4
	v_xor_b32_e32 v4, vcc_lo, v4
	ds_read_b32 v27, v28 offset:16
	v_and_b32_e32 v4, v32, v4
	v_and_b32_e32 v5, v0, v5
	v_mbcnt_lo_u32_b32 v0, v4, 0
	v_mbcnt_hi_u32_b32 v31, v5, v0
	v_cmp_eq_u32_e32 vcc, 0, v31
	v_cmp_ne_u64_e64 s[0:1], 0, v[4:5]
	s_and_b64 s[4:5], s[0:1], vcc
	; wave barrier
	s_and_saveexec_b64 s[0:1], s[4:5]
	s_cbranch_execz .LBB14_207
; %bb.206:
	v_bcnt_u32_b32 v0, v4, 0
	v_bcnt_u32_b32 v0, v5, v0
	s_waitcnt lgkmcnt(0)
	v_add_u32_e32 v0, v27, v0
	ds_write_b32 v28, v0 offset:16
.LBB14_207:
	s_or_b64 exec, exec, s[0:1]
	s_waitcnt vmcnt(10)
	v_xor_b32_e32 v30, 0x7fffffff, v30
	v_lshrrev_b32_e32 v0, s80, v30
	v_and_b32_e32 v36, s11, v0
	v_mul_lo_u32 v0, v36, 20
	v_lshl_add_u32 v33, v19, 2, v0
	v_and_b32_e32 v0, 1, v36
	v_lshl_add_u64 v[4:5], v[0:1], 0, -1
	v_cmp_ne_u32_e32 vcc, 0, v0
	; wave barrier
	s_nop 1
	v_xor_b32_e32 v4, vcc_lo, v4
	v_xor_b32_e32 v0, vcc_hi, v5
	v_and_b32_e32 v37, exec_lo, v4
	v_lshlrev_b32_e32 v5, 30, v36
	v_mov_b32_e32 v4, v1
	v_cmp_gt_i64_e32 vcc, 0, v[4:5]
	v_not_b32_e32 v4, v5
	v_ashrrev_i32_e32 v4, 31, v4
	v_and_b32_e32 v0, exec_hi, v0
	v_xor_b32_e32 v5, vcc_hi, v4
	v_xor_b32_e32 v4, vcc_lo, v4
	v_and_b32_e32 v0, v0, v5
	v_and_b32_e32 v37, v37, v4
	v_lshlrev_b32_e32 v5, 29, v36
	v_mov_b32_e32 v4, v1
	v_cmp_gt_i64_e32 vcc, 0, v[4:5]
	v_not_b32_e32 v4, v5
	v_ashrrev_i32_e32 v4, 31, v4
	v_xor_b32_e32 v5, vcc_hi, v4
	v_xor_b32_e32 v4, vcc_lo, v4
	v_and_b32_e32 v0, v0, v5
	v_and_b32_e32 v37, v37, v4
	v_lshlrev_b32_e32 v5, 28, v36
	v_mov_b32_e32 v4, v1
	v_cmp_gt_i64_e32 vcc, 0, v[4:5]
	v_not_b32_e32 v4, v5
	v_ashrrev_i32_e32 v4, 31, v4
	;; [unrolled: 9-line block ×5, first 2 shown]
	v_xor_b32_e32 v5, vcc_hi, v4
	v_xor_b32_e32 v4, vcc_lo, v4
	v_and_b32_e32 v0, v0, v5
	v_lshlrev_b32_e32 v5, 24, v36
	v_and_b32_e32 v37, v37, v4
	v_mov_b32_e32 v4, v1
	v_not_b32_e32 v1, v5
	v_cmp_gt_i64_e32 vcc, 0, v[4:5]
	v_ashrrev_i32_e32 v1, 31, v1
	ds_read_b32 v32, v33 offset:16
	v_xor_b32_e32 v4, vcc_hi, v1
	v_xor_b32_e32 v5, vcc_lo, v1
	v_and_b32_e32 v1, v0, v4
	v_and_b32_e32 v0, v37, v5
	v_mbcnt_lo_u32_b32 v4, v0, 0
	v_mbcnt_hi_u32_b32 v36, v1, v4
	v_cmp_eq_u32_e32 vcc, 0, v36
	v_cmp_ne_u64_e64 s[0:1], 0, v[0:1]
	s_and_b64 s[4:5], s[0:1], vcc
	; wave barrier
	s_and_saveexec_b64 s[0:1], s[4:5]
	s_cbranch_execz .LBB14_209
; %bb.208:
	v_bcnt_u32_b32 v0, v0, 0
	v_bcnt_u32_b32 v0, v1, v0
	s_waitcnt lgkmcnt(0)
	v_add_u32_e32 v0, v32, v0
	ds_write_b32 v33, v0 offset:16
.LBB14_209:
	s_or_b64 exec, exec, s[0:1]
	s_waitcnt vmcnt(9)
	v_xor_b32_e32 v35, 0x7fffffff, v35
	v_lshrrev_b32_e32 v0, s80, v35
	v_and_b32_e32 v41, s11, v0
	v_mul_lo_u32 v0, v41, 20
	v_lshl_add_u32 v38, v19, 2, v0
	v_and_b32_e32 v0, 1, v41
	v_mov_b32_e32 v1, 0
	v_lshl_add_u64 v[4:5], v[0:1], 0, -1
	v_cmp_ne_u32_e32 vcc, 0, v0
	; wave barrier
	s_nop 1
	v_xor_b32_e32 v4, vcc_lo, v4
	v_xor_b32_e32 v0, vcc_hi, v5
	v_and_b32_e32 v42, exec_lo, v4
	v_lshlrev_b32_e32 v5, 30, v41
	v_mov_b32_e32 v4, v1
	v_cmp_gt_i64_e32 vcc, 0, v[4:5]
	v_not_b32_e32 v4, v5
	v_ashrrev_i32_e32 v4, 31, v4
	v_and_b32_e32 v0, exec_hi, v0
	v_xor_b32_e32 v5, vcc_hi, v4
	v_xor_b32_e32 v4, vcc_lo, v4
	v_and_b32_e32 v0, v0, v5
	v_and_b32_e32 v42, v42, v4
	v_lshlrev_b32_e32 v5, 29, v41
	v_mov_b32_e32 v4, v1
	v_cmp_gt_i64_e32 vcc, 0, v[4:5]
	v_not_b32_e32 v4, v5
	v_ashrrev_i32_e32 v4, 31, v4
	v_xor_b32_e32 v5, vcc_hi, v4
	v_xor_b32_e32 v4, vcc_lo, v4
	v_and_b32_e32 v0, v0, v5
	v_and_b32_e32 v42, v42, v4
	v_lshlrev_b32_e32 v5, 28, v41
	v_mov_b32_e32 v4, v1
	v_cmp_gt_i64_e32 vcc, 0, v[4:5]
	v_not_b32_e32 v4, v5
	v_ashrrev_i32_e32 v4, 31, v4
	;; [unrolled: 9-line block ×6, first 2 shown]
	v_xor_b32_e32 v5, vcc_hi, v4
	v_xor_b32_e32 v4, vcc_lo, v4
	ds_read_b32 v37, v38 offset:16
	v_and_b32_e32 v4, v42, v4
	v_and_b32_e32 v5, v0, v5
	v_mbcnt_lo_u32_b32 v0, v4, 0
	v_mbcnt_hi_u32_b32 v41, v5, v0
	v_cmp_eq_u32_e32 vcc, 0, v41
	v_cmp_ne_u64_e64 s[0:1], 0, v[4:5]
	s_and_b64 s[4:5], s[0:1], vcc
	; wave barrier
	s_and_saveexec_b64 s[0:1], s[4:5]
	s_cbranch_execz .LBB14_211
; %bb.210:
	v_bcnt_u32_b32 v0, v4, 0
	v_bcnt_u32_b32 v0, v5, v0
	s_waitcnt lgkmcnt(0)
	v_add_u32_e32 v0, v37, v0
	ds_write_b32 v38, v0 offset:16
.LBB14_211:
	s_or_b64 exec, exec, s[0:1]
	s_waitcnt vmcnt(8)
	v_xor_b32_e32 v40, 0x7fffffff, v40
	v_lshrrev_b32_e32 v0, s80, v40
	v_and_b32_e32 v46, s11, v0
	v_mul_lo_u32 v0, v46, 20
	v_lshl_add_u32 v43, v19, 2, v0
	v_and_b32_e32 v0, 1, v46
	v_lshl_add_u64 v[4:5], v[0:1], 0, -1
	v_cmp_ne_u32_e32 vcc, 0, v0
	; wave barrier
	s_nop 1
	v_xor_b32_e32 v4, vcc_lo, v4
	v_xor_b32_e32 v0, vcc_hi, v5
	v_and_b32_e32 v47, exec_lo, v4
	v_lshlrev_b32_e32 v5, 30, v46
	v_mov_b32_e32 v4, v1
	v_cmp_gt_i64_e32 vcc, 0, v[4:5]
	v_not_b32_e32 v4, v5
	v_ashrrev_i32_e32 v4, 31, v4
	v_and_b32_e32 v0, exec_hi, v0
	v_xor_b32_e32 v5, vcc_hi, v4
	v_xor_b32_e32 v4, vcc_lo, v4
	v_and_b32_e32 v0, v0, v5
	v_and_b32_e32 v47, v47, v4
	v_lshlrev_b32_e32 v5, 29, v46
	v_mov_b32_e32 v4, v1
	v_cmp_gt_i64_e32 vcc, 0, v[4:5]
	v_not_b32_e32 v4, v5
	v_ashrrev_i32_e32 v4, 31, v4
	v_xor_b32_e32 v5, vcc_hi, v4
	v_xor_b32_e32 v4, vcc_lo, v4
	v_and_b32_e32 v0, v0, v5
	v_and_b32_e32 v47, v47, v4
	v_lshlrev_b32_e32 v5, 28, v46
	v_mov_b32_e32 v4, v1
	v_cmp_gt_i64_e32 vcc, 0, v[4:5]
	v_not_b32_e32 v4, v5
	v_ashrrev_i32_e32 v4, 31, v4
	;; [unrolled: 9-line block ×5, first 2 shown]
	v_xor_b32_e32 v5, vcc_hi, v4
	v_xor_b32_e32 v4, vcc_lo, v4
	v_and_b32_e32 v0, v0, v5
	v_lshlrev_b32_e32 v5, 24, v46
	v_and_b32_e32 v47, v47, v4
	v_mov_b32_e32 v4, v1
	v_not_b32_e32 v1, v5
	v_cmp_gt_i64_e32 vcc, 0, v[4:5]
	v_ashrrev_i32_e32 v1, 31, v1
	ds_read_b32 v42, v43 offset:16
	v_xor_b32_e32 v4, vcc_hi, v1
	v_xor_b32_e32 v5, vcc_lo, v1
	v_and_b32_e32 v1, v0, v4
	v_and_b32_e32 v0, v47, v5
	v_mbcnt_lo_u32_b32 v4, v0, 0
	v_mbcnt_hi_u32_b32 v46, v1, v4
	v_cmp_eq_u32_e32 vcc, 0, v46
	v_cmp_ne_u64_e64 s[0:1], 0, v[0:1]
	s_and_b64 s[4:5], s[0:1], vcc
	; wave barrier
	s_and_saveexec_b64 s[0:1], s[4:5]
	s_cbranch_execz .LBB14_213
; %bb.212:
	v_bcnt_u32_b32 v0, v0, 0
	v_bcnt_u32_b32 v0, v1, v0
	s_waitcnt lgkmcnt(0)
	v_add_u32_e32 v0, v42, v0
	ds_write_b32 v43, v0 offset:16
.LBB14_213:
	s_or_b64 exec, exec, s[0:1]
	s_waitcnt vmcnt(7)
	v_xor_b32_e32 v45, 0x7fffffff, v45
	v_lshrrev_b32_e32 v0, s80, v45
	v_and_b32_e32 v50, s11, v0
	v_mul_lo_u32 v0, v50, 20
	v_lshl_add_u32 v48, v19, 2, v0
	v_and_b32_e32 v0, 1, v50
	v_mov_b32_e32 v1, 0
	v_lshl_add_u64 v[4:5], v[0:1], 0, -1
	v_cmp_ne_u32_e32 vcc, 0, v0
	; wave barrier
	s_nop 1
	v_xor_b32_e32 v4, vcc_lo, v4
	v_xor_b32_e32 v0, vcc_hi, v5
	v_and_b32_e32 v51, exec_lo, v4
	v_lshlrev_b32_e32 v5, 30, v50
	v_mov_b32_e32 v4, v1
	v_cmp_gt_i64_e32 vcc, 0, v[4:5]
	v_not_b32_e32 v4, v5
	v_ashrrev_i32_e32 v4, 31, v4
	v_and_b32_e32 v0, exec_hi, v0
	v_xor_b32_e32 v5, vcc_hi, v4
	v_xor_b32_e32 v4, vcc_lo, v4
	v_and_b32_e32 v0, v0, v5
	v_and_b32_e32 v51, v51, v4
	v_lshlrev_b32_e32 v5, 29, v50
	v_mov_b32_e32 v4, v1
	v_cmp_gt_i64_e32 vcc, 0, v[4:5]
	v_not_b32_e32 v4, v5
	v_ashrrev_i32_e32 v4, 31, v4
	v_xor_b32_e32 v5, vcc_hi, v4
	v_xor_b32_e32 v4, vcc_lo, v4
	v_and_b32_e32 v0, v0, v5
	v_and_b32_e32 v51, v51, v4
	v_lshlrev_b32_e32 v5, 28, v50
	v_mov_b32_e32 v4, v1
	v_cmp_gt_i64_e32 vcc, 0, v[4:5]
	v_not_b32_e32 v4, v5
	v_ashrrev_i32_e32 v4, 31, v4
	;; [unrolled: 9-line block ×6, first 2 shown]
	v_xor_b32_e32 v5, vcc_hi, v4
	v_xor_b32_e32 v4, vcc_lo, v4
	ds_read_b32 v47, v48 offset:16
	v_and_b32_e32 v4, v51, v4
	v_and_b32_e32 v5, v0, v5
	v_mbcnt_lo_u32_b32 v0, v4, 0
	v_mbcnt_hi_u32_b32 v50, v5, v0
	v_cmp_eq_u32_e32 vcc, 0, v50
	v_cmp_ne_u64_e64 s[0:1], 0, v[4:5]
	s_and_b64 s[4:5], s[0:1], vcc
	; wave barrier
	s_and_saveexec_b64 s[0:1], s[4:5]
	s_cbranch_execz .LBB14_215
; %bb.214:
	v_bcnt_u32_b32 v0, v4, 0
	v_bcnt_u32_b32 v0, v5, v0
	s_waitcnt lgkmcnt(0)
	v_add_u32_e32 v0, v47, v0
	ds_write_b32 v48, v0 offset:16
.LBB14_215:
	s_or_b64 exec, exec, s[0:1]
	s_waitcnt vmcnt(6)
	v_xor_b32_e32 v49, 0x7fffffff, v49
	v_lshrrev_b32_e32 v0, s80, v49
	v_and_b32_e32 v53, s11, v0
	v_mul_lo_u32 v0, v53, 20
	v_lshl_add_u32 v52, v19, 2, v0
	v_and_b32_e32 v0, 1, v53
	v_lshl_add_u64 v[4:5], v[0:1], 0, -1
	v_cmp_ne_u32_e32 vcc, 0, v0
	; wave barrier
	s_nop 1
	v_xor_b32_e32 v4, vcc_lo, v4
	v_xor_b32_e32 v0, vcc_hi, v5
	v_and_b32_e32 v54, exec_lo, v4
	v_lshlrev_b32_e32 v5, 30, v53
	v_mov_b32_e32 v4, v1
	v_cmp_gt_i64_e32 vcc, 0, v[4:5]
	v_not_b32_e32 v4, v5
	v_ashrrev_i32_e32 v4, 31, v4
	v_and_b32_e32 v0, exec_hi, v0
	v_xor_b32_e32 v5, vcc_hi, v4
	v_xor_b32_e32 v4, vcc_lo, v4
	v_and_b32_e32 v0, v0, v5
	v_and_b32_e32 v54, v54, v4
	v_lshlrev_b32_e32 v5, 29, v53
	v_mov_b32_e32 v4, v1
	v_cmp_gt_i64_e32 vcc, 0, v[4:5]
	v_not_b32_e32 v4, v5
	v_ashrrev_i32_e32 v4, 31, v4
	v_xor_b32_e32 v5, vcc_hi, v4
	v_xor_b32_e32 v4, vcc_lo, v4
	v_and_b32_e32 v0, v0, v5
	v_and_b32_e32 v54, v54, v4
	v_lshlrev_b32_e32 v5, 28, v53
	v_mov_b32_e32 v4, v1
	v_cmp_gt_i64_e32 vcc, 0, v[4:5]
	v_not_b32_e32 v4, v5
	v_ashrrev_i32_e32 v4, 31, v4
	;; [unrolled: 9-line block ×5, first 2 shown]
	v_xor_b32_e32 v5, vcc_hi, v4
	v_xor_b32_e32 v4, vcc_lo, v4
	v_and_b32_e32 v0, v0, v5
	v_lshlrev_b32_e32 v5, 24, v53
	v_and_b32_e32 v54, v54, v4
	v_mov_b32_e32 v4, v1
	v_not_b32_e32 v1, v5
	v_cmp_gt_i64_e32 vcc, 0, v[4:5]
	v_ashrrev_i32_e32 v1, 31, v1
	ds_read_b32 v51, v52 offset:16
	v_xor_b32_e32 v4, vcc_hi, v1
	v_xor_b32_e32 v5, vcc_lo, v1
	v_and_b32_e32 v1, v0, v4
	v_and_b32_e32 v0, v54, v5
	v_mbcnt_lo_u32_b32 v4, v0, 0
	v_mbcnt_hi_u32_b32 v53, v1, v4
	v_cmp_eq_u32_e32 vcc, 0, v53
	v_cmp_ne_u64_e64 s[0:1], 0, v[0:1]
	s_and_b64 s[4:5], s[0:1], vcc
	; wave barrier
	s_and_saveexec_b64 s[0:1], s[4:5]
	s_cbranch_execz .LBB14_217
; %bb.216:
	v_bcnt_u32_b32 v0, v0, 0
	v_bcnt_u32_b32 v0, v1, v0
	s_waitcnt lgkmcnt(0)
	v_add_u32_e32 v0, v51, v0
	ds_write_b32 v52, v0 offset:16
.LBB14_217:
	s_or_b64 exec, exec, s[0:1]
	s_waitcnt vmcnt(5)
	v_xor_b32_e32 v44, 0x7fffffff, v44
	v_lshrrev_b32_e32 v0, s80, v44
	v_and_b32_e32 v56, s11, v0
	v_mul_lo_u32 v0, v56, 20
	v_lshl_add_u32 v55, v19, 2, v0
	v_and_b32_e32 v0, 1, v56
	v_mov_b32_e32 v1, 0
	v_lshl_add_u64 v[4:5], v[0:1], 0, -1
	v_cmp_ne_u32_e32 vcc, 0, v0
	; wave barrier
	s_nop 1
	v_xor_b32_e32 v4, vcc_lo, v4
	v_xor_b32_e32 v0, vcc_hi, v5
	v_and_b32_e32 v57, exec_lo, v4
	v_lshlrev_b32_e32 v5, 30, v56
	v_mov_b32_e32 v4, v1
	v_cmp_gt_i64_e32 vcc, 0, v[4:5]
	v_not_b32_e32 v4, v5
	v_ashrrev_i32_e32 v4, 31, v4
	v_and_b32_e32 v0, exec_hi, v0
	v_xor_b32_e32 v5, vcc_hi, v4
	v_xor_b32_e32 v4, vcc_lo, v4
	v_and_b32_e32 v0, v0, v5
	v_and_b32_e32 v57, v57, v4
	v_lshlrev_b32_e32 v5, 29, v56
	v_mov_b32_e32 v4, v1
	v_cmp_gt_i64_e32 vcc, 0, v[4:5]
	v_not_b32_e32 v4, v5
	v_ashrrev_i32_e32 v4, 31, v4
	v_xor_b32_e32 v5, vcc_hi, v4
	v_xor_b32_e32 v4, vcc_lo, v4
	v_and_b32_e32 v0, v0, v5
	v_and_b32_e32 v57, v57, v4
	v_lshlrev_b32_e32 v5, 28, v56
	v_mov_b32_e32 v4, v1
	v_cmp_gt_i64_e32 vcc, 0, v[4:5]
	v_not_b32_e32 v4, v5
	v_ashrrev_i32_e32 v4, 31, v4
	;; [unrolled: 9-line block ×6, first 2 shown]
	v_xor_b32_e32 v5, vcc_hi, v4
	v_xor_b32_e32 v4, vcc_lo, v4
	ds_read_b32 v54, v55 offset:16
	v_and_b32_e32 v4, v57, v4
	v_and_b32_e32 v5, v0, v5
	v_mbcnt_lo_u32_b32 v0, v4, 0
	v_mbcnt_hi_u32_b32 v56, v5, v0
	v_cmp_eq_u32_e32 vcc, 0, v56
	v_cmp_ne_u64_e64 s[0:1], 0, v[4:5]
	s_and_b64 s[4:5], s[0:1], vcc
	; wave barrier
	s_and_saveexec_b64 s[0:1], s[4:5]
	s_cbranch_execz .LBB14_219
; %bb.218:
	v_bcnt_u32_b32 v0, v4, 0
	v_bcnt_u32_b32 v0, v5, v0
	s_waitcnt lgkmcnt(0)
	v_add_u32_e32 v0, v54, v0
	ds_write_b32 v55, v0 offset:16
.LBB14_219:
	s_or_b64 exec, exec, s[0:1]
	s_waitcnt vmcnt(4)
	v_xor_b32_e32 v39, 0x7fffffff, v39
	v_lshrrev_b32_e32 v0, s80, v39
	v_and_b32_e32 v59, s11, v0
	v_mul_lo_u32 v0, v59, 20
	v_lshl_add_u32 v58, v19, 2, v0
	v_and_b32_e32 v0, 1, v59
	v_lshl_add_u64 v[4:5], v[0:1], 0, -1
	v_cmp_ne_u32_e32 vcc, 0, v0
	; wave barrier
	s_nop 1
	v_xor_b32_e32 v4, vcc_lo, v4
	v_xor_b32_e32 v0, vcc_hi, v5
	v_and_b32_e32 v60, exec_lo, v4
	v_lshlrev_b32_e32 v5, 30, v59
	v_mov_b32_e32 v4, v1
	v_cmp_gt_i64_e32 vcc, 0, v[4:5]
	v_not_b32_e32 v4, v5
	v_ashrrev_i32_e32 v4, 31, v4
	v_and_b32_e32 v0, exec_hi, v0
	v_xor_b32_e32 v5, vcc_hi, v4
	v_xor_b32_e32 v4, vcc_lo, v4
	v_and_b32_e32 v0, v0, v5
	v_and_b32_e32 v60, v60, v4
	v_lshlrev_b32_e32 v5, 29, v59
	v_mov_b32_e32 v4, v1
	v_cmp_gt_i64_e32 vcc, 0, v[4:5]
	v_not_b32_e32 v4, v5
	v_ashrrev_i32_e32 v4, 31, v4
	v_xor_b32_e32 v5, vcc_hi, v4
	v_xor_b32_e32 v4, vcc_lo, v4
	v_and_b32_e32 v0, v0, v5
	v_and_b32_e32 v60, v60, v4
	v_lshlrev_b32_e32 v5, 28, v59
	v_mov_b32_e32 v4, v1
	v_cmp_gt_i64_e32 vcc, 0, v[4:5]
	v_not_b32_e32 v4, v5
	v_ashrrev_i32_e32 v4, 31, v4
	;; [unrolled: 9-line block ×5, first 2 shown]
	v_xor_b32_e32 v5, vcc_hi, v4
	v_xor_b32_e32 v4, vcc_lo, v4
	v_and_b32_e32 v0, v0, v5
	v_lshlrev_b32_e32 v5, 24, v59
	v_and_b32_e32 v60, v60, v4
	v_mov_b32_e32 v4, v1
	v_not_b32_e32 v1, v5
	v_cmp_gt_i64_e32 vcc, 0, v[4:5]
	v_ashrrev_i32_e32 v1, 31, v1
	ds_read_b32 v57, v58 offset:16
	v_xor_b32_e32 v4, vcc_hi, v1
	v_xor_b32_e32 v5, vcc_lo, v1
	v_and_b32_e32 v1, v0, v4
	v_and_b32_e32 v0, v60, v5
	v_mbcnt_lo_u32_b32 v4, v0, 0
	v_mbcnt_hi_u32_b32 v59, v1, v4
	v_cmp_eq_u32_e32 vcc, 0, v59
	v_cmp_ne_u64_e64 s[0:1], 0, v[0:1]
	s_and_b64 s[4:5], s[0:1], vcc
	; wave barrier
	s_and_saveexec_b64 s[0:1], s[4:5]
	s_cbranch_execz .LBB14_221
; %bb.220:
	v_bcnt_u32_b32 v0, v0, 0
	v_bcnt_u32_b32 v0, v1, v0
	s_waitcnt lgkmcnt(0)
	v_add_u32_e32 v0, v57, v0
	ds_write_b32 v58, v0 offset:16
.LBB14_221:
	s_or_b64 exec, exec, s[0:1]
	s_waitcnt vmcnt(3)
	v_xor_b32_e32 v34, 0x7fffffff, v34
	v_lshrrev_b32_e32 v0, s80, v34
	v_and_b32_e32 v62, s11, v0
	v_mul_lo_u32 v0, v62, 20
	v_lshl_add_u32 v61, v19, 2, v0
	v_and_b32_e32 v0, 1, v62
	v_mov_b32_e32 v1, 0
	v_lshl_add_u64 v[4:5], v[0:1], 0, -1
	v_cmp_ne_u32_e32 vcc, 0, v0
	; wave barrier
	s_nop 1
	v_xor_b32_e32 v4, vcc_lo, v4
	v_xor_b32_e32 v0, vcc_hi, v5
	v_and_b32_e32 v63, exec_lo, v4
	v_lshlrev_b32_e32 v5, 30, v62
	v_mov_b32_e32 v4, v1
	v_cmp_gt_i64_e32 vcc, 0, v[4:5]
	v_not_b32_e32 v4, v5
	v_ashrrev_i32_e32 v4, 31, v4
	v_and_b32_e32 v0, exec_hi, v0
	v_xor_b32_e32 v5, vcc_hi, v4
	v_xor_b32_e32 v4, vcc_lo, v4
	v_and_b32_e32 v0, v0, v5
	v_and_b32_e32 v63, v63, v4
	v_lshlrev_b32_e32 v5, 29, v62
	v_mov_b32_e32 v4, v1
	v_cmp_gt_i64_e32 vcc, 0, v[4:5]
	v_not_b32_e32 v4, v5
	v_ashrrev_i32_e32 v4, 31, v4
	v_xor_b32_e32 v5, vcc_hi, v4
	v_xor_b32_e32 v4, vcc_lo, v4
	v_and_b32_e32 v0, v0, v5
	v_and_b32_e32 v63, v63, v4
	v_lshlrev_b32_e32 v5, 28, v62
	v_mov_b32_e32 v4, v1
	v_cmp_gt_i64_e32 vcc, 0, v[4:5]
	v_not_b32_e32 v4, v5
	v_ashrrev_i32_e32 v4, 31, v4
	;; [unrolled: 9-line block ×6, first 2 shown]
	v_xor_b32_e32 v5, vcc_hi, v4
	v_xor_b32_e32 v4, vcc_lo, v4
	ds_read_b32 v60, v61 offset:16
	v_and_b32_e32 v4, v63, v4
	v_and_b32_e32 v5, v0, v5
	v_mbcnt_lo_u32_b32 v0, v4, 0
	v_mbcnt_hi_u32_b32 v62, v5, v0
	v_cmp_eq_u32_e32 vcc, 0, v62
	v_cmp_ne_u64_e64 s[0:1], 0, v[4:5]
	s_and_b64 s[4:5], s[0:1], vcc
	; wave barrier
	s_and_saveexec_b64 s[0:1], s[4:5]
	s_cbranch_execz .LBB14_223
; %bb.222:
	v_bcnt_u32_b32 v0, v4, 0
	v_bcnt_u32_b32 v0, v5, v0
	s_waitcnt lgkmcnt(0)
	v_add_u32_e32 v0, v60, v0
	ds_write_b32 v61, v0 offset:16
.LBB14_223:
	s_or_b64 exec, exec, s[0:1]
	s_waitcnt vmcnt(2)
	v_xor_b32_e32 v29, 0x7fffffff, v29
	v_lshrrev_b32_e32 v0, s80, v29
	v_and_b32_e32 v65, s11, v0
	v_mul_lo_u32 v0, v65, 20
	v_lshl_add_u32 v64, v19, 2, v0
	v_and_b32_e32 v0, 1, v65
	v_lshl_add_u64 v[4:5], v[0:1], 0, -1
	v_cmp_ne_u32_e32 vcc, 0, v0
	; wave barrier
	s_nop 1
	v_xor_b32_e32 v4, vcc_lo, v4
	v_xor_b32_e32 v0, vcc_hi, v5
	v_and_b32_e32 v66, exec_lo, v4
	v_lshlrev_b32_e32 v5, 30, v65
	v_mov_b32_e32 v4, v1
	v_cmp_gt_i64_e32 vcc, 0, v[4:5]
	v_not_b32_e32 v4, v5
	v_ashrrev_i32_e32 v4, 31, v4
	v_and_b32_e32 v0, exec_hi, v0
	v_xor_b32_e32 v5, vcc_hi, v4
	v_xor_b32_e32 v4, vcc_lo, v4
	v_and_b32_e32 v0, v0, v5
	v_and_b32_e32 v66, v66, v4
	v_lshlrev_b32_e32 v5, 29, v65
	v_mov_b32_e32 v4, v1
	v_cmp_gt_i64_e32 vcc, 0, v[4:5]
	v_not_b32_e32 v4, v5
	v_ashrrev_i32_e32 v4, 31, v4
	v_xor_b32_e32 v5, vcc_hi, v4
	v_xor_b32_e32 v4, vcc_lo, v4
	v_and_b32_e32 v0, v0, v5
	v_and_b32_e32 v66, v66, v4
	v_lshlrev_b32_e32 v5, 28, v65
	v_mov_b32_e32 v4, v1
	v_cmp_gt_i64_e32 vcc, 0, v[4:5]
	v_not_b32_e32 v4, v5
	v_ashrrev_i32_e32 v4, 31, v4
	;; [unrolled: 9-line block ×5, first 2 shown]
	v_xor_b32_e32 v5, vcc_hi, v4
	v_xor_b32_e32 v4, vcc_lo, v4
	v_and_b32_e32 v0, v0, v5
	v_lshlrev_b32_e32 v5, 24, v65
	v_and_b32_e32 v66, v66, v4
	v_mov_b32_e32 v4, v1
	v_not_b32_e32 v1, v5
	v_cmp_gt_i64_e32 vcc, 0, v[4:5]
	v_ashrrev_i32_e32 v1, 31, v1
	ds_read_b32 v63, v64 offset:16
	v_xor_b32_e32 v4, vcc_hi, v1
	v_xor_b32_e32 v5, vcc_lo, v1
	v_and_b32_e32 v1, v0, v4
	v_and_b32_e32 v0, v66, v5
	v_mbcnt_lo_u32_b32 v4, v0, 0
	v_mbcnt_hi_u32_b32 v66, v1, v4
	v_cmp_eq_u32_e32 vcc, 0, v66
	v_cmp_ne_u64_e64 s[0:1], 0, v[0:1]
	s_and_b64 s[4:5], s[0:1], vcc
	; wave barrier
	s_and_saveexec_b64 s[0:1], s[4:5]
	s_cbranch_execz .LBB14_225
; %bb.224:
	v_bcnt_u32_b32 v0, v0, 0
	v_bcnt_u32_b32 v0, v1, v0
	s_waitcnt lgkmcnt(0)
	v_add_u32_e32 v0, v63, v0
	ds_write_b32 v64, v0 offset:16
.LBB14_225:
	s_or_b64 exec, exec, s[0:1]
	s_waitcnt vmcnt(1)
	v_xor_b32_e32 v65, 0x7fffffff, v24
	v_lshrrev_b32_e32 v0, s80, v65
	v_and_b32_e32 v68, s11, v0
	v_mul_lo_u32 v0, v68, 20
	v_lshl_add_u32 v24, v19, 2, v0
	v_and_b32_e32 v0, 1, v68
	v_mov_b32_e32 v1, 0
	v_lshl_add_u64 v[4:5], v[0:1], 0, -1
	v_cmp_ne_u32_e32 vcc, 0, v0
	; wave barrier
	s_nop 1
	v_xor_b32_e32 v4, vcc_lo, v4
	v_xor_b32_e32 v0, vcc_hi, v5
	v_and_b32_e32 v69, exec_lo, v4
	v_lshlrev_b32_e32 v5, 30, v68
	v_mov_b32_e32 v4, v1
	v_cmp_gt_i64_e32 vcc, 0, v[4:5]
	v_not_b32_e32 v4, v5
	v_ashrrev_i32_e32 v4, 31, v4
	v_and_b32_e32 v0, exec_hi, v0
	v_xor_b32_e32 v5, vcc_hi, v4
	v_xor_b32_e32 v4, vcc_lo, v4
	v_and_b32_e32 v0, v0, v5
	v_and_b32_e32 v69, v69, v4
	v_lshlrev_b32_e32 v5, 29, v68
	v_mov_b32_e32 v4, v1
	v_cmp_gt_i64_e32 vcc, 0, v[4:5]
	v_not_b32_e32 v4, v5
	v_ashrrev_i32_e32 v4, 31, v4
	v_xor_b32_e32 v5, vcc_hi, v4
	v_xor_b32_e32 v4, vcc_lo, v4
	v_and_b32_e32 v0, v0, v5
	v_and_b32_e32 v69, v69, v4
	v_lshlrev_b32_e32 v5, 28, v68
	v_mov_b32_e32 v4, v1
	v_cmp_gt_i64_e32 vcc, 0, v[4:5]
	v_not_b32_e32 v4, v5
	v_ashrrev_i32_e32 v4, 31, v4
	;; [unrolled: 9-line block ×6, first 2 shown]
	v_xor_b32_e32 v5, vcc_hi, v4
	v_xor_b32_e32 v4, vcc_lo, v4
	ds_read_b32 v67, v24 offset:16
	v_and_b32_e32 v4, v69, v4
	v_and_b32_e32 v5, v0, v5
	v_mbcnt_lo_u32_b32 v0, v4, 0
	v_mbcnt_hi_u32_b32 v69, v5, v0
	v_cmp_eq_u32_e32 vcc, 0, v69
	v_cmp_ne_u64_e64 s[0:1], 0, v[4:5]
	s_and_b64 s[4:5], s[0:1], vcc
	; wave barrier
	s_and_saveexec_b64 s[0:1], s[4:5]
	s_cbranch_execz .LBB14_227
; %bb.226:
	v_bcnt_u32_b32 v0, v4, 0
	v_bcnt_u32_b32 v0, v5, v0
	s_waitcnt lgkmcnt(0)
	v_add_u32_e32 v0, v67, v0
	ds_write_b32 v24, v0 offset:16
.LBB14_227:
	s_or_b64 exec, exec, s[0:1]
	s_waitcnt vmcnt(0)
	v_xor_b32_e32 v68, 0x7fffffff, v6
	v_lshrrev_b32_e32 v0, s80, v68
	v_and_b32_e32 v6, s11, v0
	v_mul_lo_u32 v0, v6, 20
	v_lshl_add_u32 v19, v19, 2, v0
	v_and_b32_e32 v0, 1, v6
	v_lshl_add_u64 v[4:5], v[0:1], 0, -1
	v_cmp_ne_u32_e32 vcc, 0, v0
	; wave barrier
	s_nop 1
	v_xor_b32_e32 v4, vcc_lo, v4
	v_xor_b32_e32 v0, vcc_hi, v5
	v_and_b32_e32 v71, exec_lo, v4
	v_lshlrev_b32_e32 v5, 30, v6
	v_mov_b32_e32 v4, v1
	v_cmp_gt_i64_e32 vcc, 0, v[4:5]
	v_not_b32_e32 v4, v5
	v_ashrrev_i32_e32 v4, 31, v4
	v_and_b32_e32 v0, exec_hi, v0
	v_xor_b32_e32 v5, vcc_hi, v4
	v_xor_b32_e32 v4, vcc_lo, v4
	v_and_b32_e32 v0, v0, v5
	v_and_b32_e32 v71, v71, v4
	v_lshlrev_b32_e32 v5, 29, v6
	v_mov_b32_e32 v4, v1
	v_cmp_gt_i64_e32 vcc, 0, v[4:5]
	v_not_b32_e32 v4, v5
	v_ashrrev_i32_e32 v4, 31, v4
	v_xor_b32_e32 v5, vcc_hi, v4
	v_xor_b32_e32 v4, vcc_lo, v4
	v_and_b32_e32 v0, v0, v5
	v_and_b32_e32 v71, v71, v4
	v_lshlrev_b32_e32 v5, 28, v6
	v_mov_b32_e32 v4, v1
	v_cmp_gt_i64_e32 vcc, 0, v[4:5]
	v_not_b32_e32 v4, v5
	v_ashrrev_i32_e32 v4, 31, v4
	;; [unrolled: 9-line block ×5, first 2 shown]
	v_xor_b32_e32 v5, vcc_hi, v4
	v_xor_b32_e32 v4, vcc_lo, v4
	v_and_b32_e32 v0, v0, v5
	v_lshlrev_b32_e32 v5, 24, v6
	v_and_b32_e32 v71, v71, v4
	v_mov_b32_e32 v4, v1
	v_not_b32_e32 v1, v5
	v_cmp_gt_i64_e32 vcc, 0, v[4:5]
	v_ashrrev_i32_e32 v1, 31, v1
	ds_read_b32 v70, v19 offset:16
	v_xor_b32_e32 v4, vcc_hi, v1
	v_xor_b32_e32 v5, vcc_lo, v1
	v_and_b32_e32 v1, v0, v4
	v_and_b32_e32 v0, v71, v5
	v_mbcnt_lo_u32_b32 v4, v0, 0
	v_mbcnt_hi_u32_b32 v71, v1, v4
	v_cmp_eq_u32_e32 vcc, 0, v71
	v_cmp_ne_u64_e64 s[0:1], 0, v[0:1]
	s_and_b64 s[4:5], s[0:1], vcc
	; wave barrier
	s_and_saveexec_b64 s[0:1], s[4:5]
	s_cbranch_execz .LBB14_229
; %bb.228:
	v_bcnt_u32_b32 v0, v0, 0
	v_bcnt_u32_b32 v0, v1, v0
	s_waitcnt lgkmcnt(0)
	v_add_u32_e32 v0, v70, v0
	ds_write_b32 v19, v0 offset:16
.LBB14_229:
	s_or_b64 exec, exec, s[0:1]
	; wave barrier
	s_waitcnt lgkmcnt(0)
	s_barrier
	ds_read2_b32 v[4:5], v7 offset0:4 offset1:5
	ds_read2_b32 v[0:1], v7 offset0:6 offset1:7
	ds_read_b32 v6, v7 offset:32
	s_waitcnt lgkmcnt(1)
	v_add3_u32 v72, v5, v4, v0
	s_waitcnt lgkmcnt(0)
	v_add3_u32 v6, v72, v1, v6
	v_and_b32_e32 v72, 15, v14
	v_cmp_ne_u32_e32 vcc, 0, v72
	v_mov_b32_dpp v73, v6 row_shr:1 row_mask:0xf bank_mask:0xf
	s_nop 0
	v_cndmask_b32_e32 v73, 0, v73, vcc
	v_add_u32_e32 v6, v73, v6
	v_cmp_lt_u32_e32 vcc, 1, v72
	s_nop 0
	v_mov_b32_dpp v73, v6 row_shr:2 row_mask:0xf bank_mask:0xf
	v_cndmask_b32_e32 v73, 0, v73, vcc
	v_add_u32_e32 v6, v6, v73
	v_cmp_lt_u32_e32 vcc, 3, v72
	s_nop 0
	v_mov_b32_dpp v73, v6 row_shr:4 row_mask:0xf bank_mask:0xf
	;; [unrolled: 5-line block ×3, first 2 shown]
	v_cndmask_b32_e32 v72, 0, v73, vcc
	v_add_u32_e32 v6, v6, v72
	v_bfe_i32 v73, v14, 4, 1
	v_cmp_lt_u32_e32 vcc, 31, v14
	v_mov_b32_dpp v72, v6 row_bcast:15 row_mask:0xf bank_mask:0xf
	v_and_b32_e32 v72, v73, v72
	v_add_u32_e32 v6, v6, v72
	v_lshrrev_b32_e32 v73, 6, v2
	s_nop 0
	v_mov_b32_dpp v72, v6 row_bcast:31 row_mask:0xf bank_mask:0xf
	v_cndmask_b32_e32 v72, 0, v72, vcc
	v_add_u32_e32 v72, v6, v72
	v_and_b32_e32 v6, 0x3c0, v2
	v_min_u32_e32 v6, 0xc0, v6
	v_or_b32_e32 v6, 63, v6
	v_cmp_eq_u32_e32 vcc, v2, v6
	s_and_saveexec_b64 s[0:1], vcc
; %bb.230:
	v_lshlrev_b32_e32 v6, 2, v73
	ds_write_b32 v6, v72
; %bb.231:
	s_or_b64 exec, exec, s[0:1]
	v_cmp_gt_u32_e32 vcc, 4, v2
	v_lshlrev_b32_e32 v6, 2, v2
	s_waitcnt lgkmcnt(0)
	s_barrier
	s_and_saveexec_b64 s[0:1], vcc
	s_cbranch_execz .LBB14_233
; %bb.232:
	ds_read_b32 v74, v6
	v_and_b32_e32 v75, 3, v14
	v_cmp_ne_u32_e32 vcc, 0, v75
	s_waitcnt lgkmcnt(0)
	v_mov_b32_dpp v76, v74 row_shr:1 row_mask:0xf bank_mask:0xf
	v_cndmask_b32_e32 v76, 0, v76, vcc
	v_add_u32_e32 v74, v76, v74
	v_cmp_lt_u32_e32 vcc, 1, v75
	s_nop 0
	v_mov_b32_dpp v76, v74 row_shr:2 row_mask:0xf bank_mask:0xf
	v_cndmask_b32_e32 v75, 0, v76, vcc
	v_add_u32_e32 v74, v74, v75
	ds_write_b32 v6, v74
.LBB14_233:
	s_or_b64 exec, exec, s[0:1]
	v_cmp_lt_u32_e32 vcc, 63, v2
	v_mov_b32_e32 v74, 0
	s_waitcnt lgkmcnt(0)
	s_barrier
	s_and_saveexec_b64 s[0:1], vcc
; %bb.234:
	v_lshl_add_u32 v73, v73, 2, -4
	ds_read_b32 v74, v73
; %bb.235:
	s_or_b64 exec, exec, s[0:1]
	v_add_u32_e32 v73, -1, v14
	v_and_b32_e32 v75, 64, v14
	v_cmp_lt_i32_e32 vcc, v73, v75
	s_waitcnt lgkmcnt(0)
	v_add_u32_e32 v72, v74, v72
	s_movk_i32 s0, 0x100
	v_cndmask_b32_e32 v73, v73, v14, vcc
	v_lshlrev_b32_e32 v73, 2, v73
	ds_bpermute_b32 v72, v73, v72
	v_cmp_eq_u32_e32 vcc, 0, v14
	s_waitcnt lgkmcnt(0)
	s_nop 0
	v_cndmask_b32_e32 v72, v72, v74, vcc
	v_cmp_ne_u32_e32 vcc, 0, v2
	s_nop 1
	v_cndmask_b32_e32 v72, 0, v72, vcc
	v_add_u32_e32 v4, v72, v4
	v_add_u32_e32 v5, v4, v5
	;; [unrolled: 1-line block ×4, first 2 shown]
	ds_write2_b32 v7, v72, v4 offset0:4 offset1:5
	ds_write2_b32 v7, v5, v0 offset0:6 offset1:7
	ds_write_b32 v7, v1 offset:32
	s_waitcnt lgkmcnt(0)
	s_barrier
	ds_read_b32 v4, v43 offset:16
	ds_read_b32 v5, v48 offset:16
	;; [unrolled: 1-line block ×17, first 2 shown]
	v_add_u32_e32 v7, 1, v2
	v_cmp_ne_u32_e32 vcc, s0, v7
	v_mov_b32_e32 v1, 0x1000
	s_and_saveexec_b64 s[0:1], vcc
; %bb.236:
	v_mul_u32_u24_e32 v1, 20, v7
	ds_read_b32 v1, v1 offset:16
; %bb.237:
	s_or_b64 exec, exec, s[0:1]
	s_waitcnt lgkmcnt(7)
	v_add_u32_e32 v48, v9, v11
	s_waitcnt lgkmcnt(6)
	v_add3_u32 v43, v16, v12, v13
	s_waitcnt lgkmcnt(3)
	v_add3_u32 v28, v31, v27, v23
	;; [unrolled: 2-line block ×3, first 2 shown]
	v_add3_u32 v24, v46, v42, v4
	v_lshlrev_b32_e32 v4, 2, v48
	v_add3_u32 v38, v21, v17, v18
	s_waitcnt lgkmcnt(0)
	s_barrier
	ds_write_b32 v4, v8 offset:2048
	v_lshlrev_b32_e32 v4, 2, v43
	v_add3_u32 v33, v26, v22, v19
	ds_write_b32 v4, v10 offset:2048
	v_lshlrev_b32_e32 v4, 2, v38
	ds_write_b32 v4, v15 offset:2048
	v_lshlrev_b32_e32 v4, 2, v33
	;; [unrolled: 2-line block ×3, first 2 shown]
	v_add3_u32 v26, v41, v37, v74
	ds_write_b32 v4, v25 offset:2048
	v_lshlrev_b32_e32 v4, 2, v27
	ds_write_b32 v4, v30 offset:2048
	v_lshlrev_b32_e32 v4, 2, v26
	v_add3_u32 v23, v50, v47, v5
	ds_write_b32 v4, v35 offset:2048
	v_lshlrev_b32_e32 v4, 2, v24
	v_add3_u32 v22, v53, v51, v52
	;; [unrolled: 3-line block ×8, first 2 shown]
	ds_write_b32 v4, v29 offset:2048
	v_lshlrev_b32_e32 v4, 2, v16
	ds_write_b32 v4, v65 offset:2048
	v_lshlrev_b32_e32 v4, 2, v5
	ds_write_b32 v4, v68 offset:2048
	v_sub_u32_e32 v4, v1, v0
	v_lshl_add_u32 v10, s2, 8, v2
	v_mov_b32_e32 v11, 0
	v_lshl_add_u64 v[8:9], v[10:11], 2, s[84:85]
	v_or_b32_e32 v1, 2.0, v4
	s_mov_b64 s[0:1], 0
	s_brev_b32 s12, -4
	v_mov_b32_e32 v7, 0
	s_waitcnt lgkmcnt(0)
	s_barrier
	global_store_dword v[8:9], v1, off sc1
                                        ; implicit-def: $sgpr4_sgpr5
	s_branch .LBB14_240
.LBB14_238:                             ;   in Loop: Header=BB14_240 Depth=1
	s_or_b64 exec, exec, s[6:7]
.LBB14_239:                             ;   in Loop: Header=BB14_240 Depth=1
	s_or_b64 exec, exec, s[4:5]
	v_and_b32_e32 v10, 0x3fffffff, v1
	v_add_u32_e32 v7, v10, v7
	v_cmp_gt_i32_e64 s[4:5], -2.0, v1
	s_and_b64 s[6:7], exec, s[4:5]
	s_or_b64 s[0:1], s[6:7], s[0:1]
	s_andn2_b64 exec, exec, s[0:1]
	s_cbranch_execz .LBB14_245
.LBB14_240:                             ; =>This Loop Header: Depth=1
                                        ;     Child Loop BB14_243 Depth 2
	s_or_b64 s[4:5], s[4:5], exec
	s_cmp_eq_u32 s3, 0
	s_cbranch_scc1 .LBB14_244
; %bb.241:                              ;   in Loop: Header=BB14_240 Depth=1
	s_add_i32 s3, s3, -1
	v_lshl_add_u32 v10, s3, 8, v2
	v_lshl_add_u64 v[12:13], v[10:11], 2, s[84:85]
	global_load_dword v1, v[12:13], off sc1
	s_waitcnt vmcnt(0)
	v_cmp_gt_u32_e32 vcc, 2.0, v1
	s_and_saveexec_b64 s[4:5], vcc
	s_cbranch_execz .LBB14_239
; %bb.242:                              ;   in Loop: Header=BB14_240 Depth=1
	s_mov_b64 s[6:7], 0
.LBB14_243:                             ;   Parent Loop BB14_240 Depth=1
                                        ; =>  This Inner Loop Header: Depth=2
	global_load_dword v1, v[12:13], off sc1
	s_waitcnt vmcnt(0)
	v_cmp_lt_u32_e32 vcc, s12, v1
	s_or_b64 s[6:7], vcc, s[6:7]
	s_andn2_b64 exec, exec, s[6:7]
	s_cbranch_execnz .LBB14_243
	s_branch .LBB14_238
.LBB14_244:                             ;   in Loop: Header=BB14_240 Depth=1
                                        ; implicit-def: $sgpr3
	s_and_b64 s[6:7], exec, s[4:5]
	s_or_b64 s[0:1], s[6:7], s[0:1]
	s_andn2_b64 exec, exec, s[0:1]
	s_cbranch_execnz .LBB14_240
.LBB14_245:
	s_or_b64 exec, exec, s[0:1]
	v_add_u32_e32 v1, v7, v4
	v_or_b32_e32 v1, 0x80000000, v1
	v_lshlrev_b32_e32 v10, 3, v2
	global_store_dword v[8:9], v1, off sc1
	global_load_dwordx2 v[8:9], v10, s[76:77]
	v_sub_co_u32_e32 v12, vcc, v7, v0
	v_sub_u32_e32 v15, v10, v6
	s_nop 0
	v_subb_co_u32_e64 v13, s[0:1], 0, 0, vcc
	v_mov_b32_e32 v1, 0
	v_mov_b32_e32 v7, v1
	v_or_b32_e32 v30, 0x1000, v6
	v_add_u32_e32 v34, 0x1400, v6
	v_add_u32_e32 v36, 0x1800, v6
	v_add_u32_e32 v40, 0x1c00, v6
	v_mov_b32_e32 v31, v1
	v_mov_b32_e32 v35, v1
	;; [unrolled: 1-line block ×4, first 2 shown]
	v_or_b32_e32 v11, 0x800, v2
	s_lshl_b64 s[0:1], s[8:9], 1
	s_add_u32 s0, s72, s0
	s_addc_u32 s1, s73, s1
	s_add_i32 s10, s10, -1
	s_cmp_lg_u32 s2, s10
	s_waitcnt vmcnt(0)
	v_lshl_add_u64 v[8:9], v[12:13], 0, v[8:9]
	ds_write_b64 v10, v[8:9]
	s_waitcnt lgkmcnt(0)
	s_barrier
	ds_read2st64_b32 v[8:9], v15 offset0:8 offset1:12
	ds_read2st64_b32 v[12:13], v15 offset0:16 offset1:20
	;; [unrolled: 1-line block ×6, first 2 shown]
	s_waitcnt lgkmcnt(5)
	v_lshrrev_b32_e32 v20, s80, v8
	v_xor_b32_e32 v25, 0x7fffffff, v8
	v_lshrrev_b32_e32 v8, s80, v9
	v_xor_b32_e32 v29, 0x7fffffff, v9
	s_waitcnt lgkmcnt(4)
	v_lshrrev_b32_e32 v9, s80, v12
	v_xor_b32_e32 v32, 0x7fffffff, v12
	v_lshrrev_b32_e32 v12, s80, v13
	v_xor_b32_e32 v39, 0x7fffffff, v13
	;; [unrolled: 5-line block ×4, first 2 shown]
	s_waitcnt lgkmcnt(1)
	v_lshrrev_b32_e32 v47, s80, v50
	v_and_b32_e32 v20, s11, v20
	v_and_b32_e32 v8, s11, v8
	;; [unrolled: 1-line block ×9, first 2 shown]
	v_lshlrev_b32_e32 v20, 3, v20
	v_lshlrev_b32_e32 v64, 3, v8
	;; [unrolled: 1-line block ×9, first 2 shown]
	ds_read_b64 v[8:9], v20
	ds_read_b64 v[12:13], v64
	;; [unrolled: 1-line block ×8, first 2 shown]
	s_waitcnt lgkmcnt(7)
	v_lshl_add_u64 v[8:9], v[8:9], 2, s[70:71]
	s_waitcnt lgkmcnt(6)
	v_lshl_add_u64 v[12:13], v[12:13], 2, s[70:71]
	;; [unrolled: 2-line block ×8, first 2 shown]
	v_lshl_add_u64 v[8:9], v[8:9], 0, v[6:7]
	v_lshl_add_u64 v[12:13], v[12:13], 0, v[6:7]
	;; [unrolled: 1-line block ×8, first 2 shown]
	global_store_dword v[8:9], v25, off
	global_store_dword v[12:13], v29, off offset:1024
	global_store_dword v[44:45], v32, off offset:2048
	;; [unrolled: 1-line block ×3, first 2 shown]
	global_store_dword v[30:31], v42, off
	global_store_dword v[34:35], v49, off
	;; [unrolled: 1-line block ×4, first 2 shown]
	v_lshrrev_b32_e32 v8, s80, v51
	v_and_b32_e32 v8, s11, v8
	ds_read_b64 v[6:7], v71
	v_lshlrev_b32_e32 v25, 3, v8
	v_lshrrev_b32_e32 v8, s80, v52
	v_and_b32_e32 v8, s11, v8
	v_lshlrev_b32_e32 v29, 3, v8
	v_lshrrev_b32_e32 v8, s80, v53
	v_and_b32_e32 v8, s11, v8
	v_lshlrev_b32_e32 v32, 3, v8
	ds_read_b64 v[8:9], v25
	ds_read_b64 v[12:13], v29
	;; [unrolled: 1-line block ×3, first 2 shown]
	s_waitcnt lgkmcnt(3)
	v_lshl_add_u64 v[6:7], v[6:7], 2, s[70:71]
	v_lshlrev_b32_e32 v34, 2, v11
	v_mov_b32_e32 v35, v1
	v_xor_b32_e32 v50, 0x7fffffff, v50
	v_lshl_add_u64 v[6:7], v[6:7], 0, v[34:35]
	v_add_u32_e32 v39, 0x900, v2
	global_store_dword v[6:7], v50, off
	s_waitcnt lgkmcnt(2)
	v_lshl_add_u64 v[6:7], v[8:9], 2, s[70:71]
	v_lshlrev_b32_e32 v8, 2, v39
	v_mov_b32_e32 v9, v1
	v_xor_b32_e32 v34, 0x7fffffff, v51
	v_lshl_add_u64 v[6:7], v[6:7], 0, v[8:9]
	global_store_dword v[6:7], v34, off
	v_lshlrev_b32_e32 v6, 1, v14
	v_mov_b32_e32 v7, v1
	v_lshl_add_u64 v[6:7], s[0:1], 0, v[6:7]
	v_lshlrev_b32_e32 v8, 1, v3
	v_lshl_add_u64 v[6:7], v[6:7], 0, v[8:9]
	global_load_ushort v3, v[6:7], off
	global_load_ushort v41, v[6:7], off offset:128
	global_load_ushort v42, v[6:7], off offset:256
	;; [unrolled: 1-line block ×7, first 2 shown]
	v_add_u32_e32 v40, 0xa00, v2
	s_waitcnt lgkmcnt(1)
	v_lshl_add_u64 v[8:9], v[12:13], 2, s[70:71]
	v_lshlrev_b32_e32 v12, 2, v40
	v_mov_b32_e32 v13, v1
	global_load_ushort v51, v[6:7], off offset:1024
	v_xor_b32_e32 v14, 0x7fffffff, v52
	v_lshl_add_u64 v[8:9], v[8:9], 0, v[12:13]
	global_load_ushort v52, v[6:7], off offset:1152
	v_add_u32_e32 v50, 0xb00, v2
	global_store_dword v[8:9], v14, off
	v_xor_b32_e32 v14, 0x7fffffff, v53
	global_load_ushort v53, v[6:7], off offset:1280
	global_load_ushort v54, v[6:7], off offset:1408
	;; [unrolled: 1-line block ×6, first 2 shown]
	s_waitcnt lgkmcnt(0)
	v_lshl_add_u64 v[8:9], v[30:31], 2, s[70:71]
	v_lshlrev_b32_e32 v12, 2, v50
	v_lshl_add_u64 v[8:9], v[8:9], 0, v[12:13]
	ds_read2st64_b32 v[12:13], v15 offset0:56 offset1:60
	global_store_dword v[8:9], v14, off
	v_or_b32_e32 v59, 0xc00, v2
	v_lshlrev_b32_e32 v36, 2, v59
	v_mov_b32_e32 v37, v1
	s_waitcnt lgkmcnt(0)
	v_lshrrev_b32_e32 v6, s80, v12
	v_and_b32_e32 v6, s11, v6
	v_lshlrev_b32_e32 v60, 3, v6
	ds_read2st64_b32 v[6:7], v15 offset0:64 offset1:68
	ds_read_b64 v[8:9], v60
	v_lshrrev_b32_e32 v14, s80, v13
	v_and_b32_e32 v14, s11, v14
	v_lshlrev_b32_e32 v61, 3, v14
	s_waitcnt lgkmcnt(1)
	v_lshrrev_b32_e32 v14, s80, v6
	v_and_b32_e32 v14, s11, v14
	v_lshlrev_b32_e32 v62, 3, v14
	v_lshrrev_b32_e32 v14, s80, v7
	v_and_b32_e32 v14, s11, v14
	v_lshlrev_b32_e32 v63, 3, v14
	ds_read_b64 v[14:15], v61
	ds_read_b64 v[30:31], v62
	;; [unrolled: 1-line block ×3, first 2 shown]
	s_waitcnt lgkmcnt(3)
	v_lshl_add_u64 v[8:9], v[8:9], 2, s[70:71]
	v_xor_b32_e32 v12, 0x7fffffff, v12
	v_lshl_add_u64 v[8:9], v[8:9], 0, v[36:37]
	v_add_u32_e32 v36, 0xd00, v2
	global_store_dword v[8:9], v12, off
	v_xor_b32_e32 v37, 0x7fffffff, v13
	s_waitcnt lgkmcnt(2)
	v_lshl_add_u64 v[8:9], v[14:15], 2, s[70:71]
	v_lshlrev_b32_e32 v12, 2, v36
	v_mov_b32_e32 v13, v1
	v_lshl_add_u64 v[8:9], v[8:9], 0, v[12:13]
	global_store_dword v[8:9], v37, off
	v_add_u32_e32 v37, 0xe00, v2
	s_waitcnt lgkmcnt(1)
	v_lshl_add_u64 v[8:9], v[30:31], 2, s[70:71]
	v_lshlrev_b32_e32 v12, 2, v37
	v_xor_b32_e32 v6, 0x7fffffff, v6
	v_lshl_add_u64 v[8:9], v[8:9], 0, v[12:13]
	v_add_u32_e32 v30, 0xf00, v2
	global_store_dword v[8:9], v6, off
	v_xor_b32_e32 v12, 0x7fffffff, v7
	s_waitcnt lgkmcnt(0)
	v_lshl_add_u64 v[6:7], v[34:35], 2, s[70:71]
	v_lshlrev_b32_e32 v8, 2, v30
	v_mov_b32_e32 v9, v1
	v_lshl_add_u64 v[6:7], v[6:7], 0, v[8:9]
	global_store_dword v[6:7], v12, off
	v_lshlrev_b32_e32 v6, 1, v48
	s_barrier
	v_lshlrev_b32_e32 v2, 1, v2
	s_waitcnt vmcnt(21)
	ds_write_b16 v6, v3 offset:2048
	v_lshlrev_b32_e32 v3, 1, v43
	s_waitcnt vmcnt(20)
	ds_write_b16 v3, v41 offset:2048
	;; [unrolled: 3-line block ×16, first 2 shown]
	s_waitcnt lgkmcnt(0)
	s_barrier
	ds_read_b64 v[6:7], v20
	ds_read_b64 v[8:9], v64
	;; [unrolled: 1-line block ×4, first 2 shown]
	v_mov_b32_e32 v3, v1
	ds_read_u16 v5, v2 offset:2048
	ds_read_u16 v16, v2 offset:2560
	;; [unrolled: 1-line block ×8, first 2 shown]
	s_waitcnt lgkmcnt(11)
	v_lshl_add_u64 v[6:7], v[6:7], 1, s[74:75]
	v_lshl_add_u64 v[6:7], v[6:7], 0, v[2:3]
	s_waitcnt lgkmcnt(7)
	global_store_short v[6:7], v5, off
	v_lshl_add_u64 v[6:7], v[8:9], 1, s[74:75]
	v_lshl_add_u64 v[6:7], v[6:7], 0, v[2:3]
	s_waitcnt lgkmcnt(6)
	global_store_short v[6:7], v16, off offset:512
	v_lshl_add_u64 v[6:7], v[12:13], 1, s[74:75]
	v_lshl_add_u64 v[6:7], v[6:7], 0, v[2:3]
	s_waitcnt lgkmcnt(5)
	global_store_short v[6:7], v17, off offset:1024
	v_lshl_add_u64 v[6:7], v[14:15], 1, s[74:75]
	v_lshl_add_u64 v[6:7], v[6:7], 0, v[2:3]
	ds_read_b64 v[8:9], v67
	s_waitcnt lgkmcnt(5)
	global_store_short v[6:7], v18, off offset:1536
	ds_read_b64 v[6:7], v68
	ds_read_b64 v[12:13], v69
	;; [unrolled: 1-line block ×3, first 2 shown]
	v_lshlrev_b32_e32 v16, 1, v11
	v_mov_b32_e32 v17, v1
	s_waitcnt lgkmcnt(3)
	v_lshl_add_u64 v[8:9], v[8:9], 1, s[74:75]
	s_waitcnt lgkmcnt(2)
	v_lshl_add_u64 v[6:7], v[6:7], 1, s[74:75]
	v_lshl_add_u64 v[8:9], v[8:9], 0, v[2:3]
	;; [unrolled: 1-line block ×3, first 2 shown]
	global_store_short v[8:9], v19, off offset:2048
	global_store_short v[6:7], v20, off offset:2560
	s_waitcnt lgkmcnt(1)
	v_lshl_add_u64 v[6:7], v[12:13], 1, s[74:75]
	v_lshl_add_u64 v[6:7], v[6:7], 0, v[2:3]
	ds_read_b64 v[8:9], v71
	global_store_short v[6:7], v21, off offset:3072
	s_waitcnt lgkmcnt(1)
	v_lshl_add_u64 v[6:7], v[14:15], 1, s[74:75]
	v_lshl_add_u64 v[6:7], v[6:7], 0, v[2:3]
	global_store_short v[6:7], v22, off offset:3584
	ds_read_b64 v[6:7], v25
	ds_read_b64 v[12:13], v29
	;; [unrolled: 1-line block ×3, first 2 shown]
	s_waitcnt lgkmcnt(3)
	v_lshl_add_u64 v[8:9], v[8:9], 1, s[74:75]
	v_lshl_add_u64 v[8:9], v[8:9], 0, v[16:17]
	ds_read_u16 v3, v2 offset:6144
	ds_read_u16 v5, v2 offset:6656
	;; [unrolled: 1-line block ×8, first 2 shown]
	s_waitcnt lgkmcnt(7)
	global_store_short v[8:9], v3, off
	v_lshl_add_u64 v[2:3], v[6:7], 1, s[74:75]
	v_lshlrev_b32_e32 v6, 1, v39
	v_mov_b32_e32 v7, v1
	v_lshl_add_u64 v[2:3], v[2:3], 0, v[6:7]
	s_waitcnt lgkmcnt(6)
	global_store_short v[2:3], v5, off
	v_lshl_add_u64 v[2:3], v[12:13], 1, s[74:75]
	v_lshlrev_b32_e32 v6, 1, v40
	v_lshl_add_u64 v[2:3], v[2:3], 0, v[6:7]
	s_waitcnt lgkmcnt(5)
	global_store_short v[2:3], v11, off
	v_lshl_add_u64 v[2:3], v[14:15], 1, s[74:75]
	v_lshlrev_b32_e32 v6, 1, v50
	v_lshl_add_u64 v[2:3], v[2:3], 0, v[6:7]
	ds_read_b64 v[6:7], v60
	s_waitcnt lgkmcnt(5)
	global_store_short v[2:3], v16, off
	ds_read_b64 v[2:3], v61
	ds_read_b64 v[8:9], v62
	;; [unrolled: 1-line block ×3, first 2 shown]
	v_lshlrev_b32_e32 v14, 1, v59
	v_mov_b32_e32 v15, v1
	s_waitcnt lgkmcnt(3)
	v_lshl_add_u64 v[6:7], v[6:7], 1, s[74:75]
	v_lshl_add_u64 v[6:7], v[6:7], 0, v[14:15]
	global_store_short v[6:7], v17, off
	s_waitcnt lgkmcnt(2)
	v_lshl_add_u64 v[2:3], v[2:3], 1, s[74:75]
	v_lshlrev_b32_e32 v6, 1, v36
	v_mov_b32_e32 v7, v1
	v_lshl_add_u64 v[2:3], v[2:3], 0, v[6:7]
	global_store_short v[2:3], v18, off
	s_waitcnt lgkmcnt(1)
	v_lshl_add_u64 v[2:3], v[8:9], 1, s[74:75]
	v_lshlrev_b32_e32 v6, 1, v37
	v_lshl_add_u64 v[2:3], v[2:3], 0, v[6:7]
	global_store_short v[2:3], v19, off
	s_waitcnt lgkmcnt(0)
	v_lshl_add_u64 v[2:3], v[12:13], 1, s[74:75]
	v_lshlrev_b32_e32 v6, 1, v30
	v_lshl_add_u64 v[2:3], v[2:3], 0, v[6:7]
	global_store_short v[2:3], v20, off
	s_cbranch_scc1 .LBB14_247
; %bb.246:
	ds_read_b64 v[2:3], v10
	v_mov_b32_e32 v5, v1
	v_lshl_add_u64 v[0:1], v[4:5], 0, v[0:1]
	s_waitcnt lgkmcnt(0)
	v_lshl_add_u64 v[0:1], v[0:1], 0, v[2:3]
	global_store_dwordx2 v10, v[0:1], s[78:79]
.LBB14_247:
	s_endpgm
.LBB14_248:
	s_or_b64 exec, exec, s[4:5]
	s_and_saveexec_b64 s[4:5], s[36:37]
	s_cbranch_execz .LBB14_179
.LBB14_249:
	v_lshlrev_b32_e32 v7, 3, v41
	ds_read_b64 v[26:27], v7
	v_lshlrev_b32_e32 v28, 1, v2
	ds_read_u16 v7, v28 offset:2560
	v_mov_b32_e32 v29, 0
	s_waitcnt lgkmcnt(1)
	v_lshl_add_u64 v[26:27], v[26:27], 1, s[74:75]
	v_lshl_add_u64 v[26:27], v[26:27], 0, v[28:29]
	s_waitcnt lgkmcnt(0)
	global_store_short v[26:27], v7, off offset:512
	s_or_b64 exec, exec, s[4:5]
	s_and_saveexec_b64 s[4:5], s[38:39]
	s_cbranch_execnz .LBB14_180
.LBB14_250:
	s_or_b64 exec, exec, s[4:5]
	s_and_saveexec_b64 s[4:5], s[40:41]
	s_cbranch_execz .LBB14_181
.LBB14_251:
	v_lshlrev_b32_e32 v7, 3, v38
	ds_read_b64 v[26:27], v7
	v_lshlrev_b32_e32 v28, 1, v2
	ds_read_u16 v7, v28 offset:3584
	v_mov_b32_e32 v29, 0
	s_waitcnt lgkmcnt(1)
	v_lshl_add_u64 v[26:27], v[26:27], 1, s[74:75]
	v_lshl_add_u64 v[26:27], v[26:27], 0, v[28:29]
	s_waitcnt lgkmcnt(0)
	global_store_short v[26:27], v7, off offset:1536
	s_or_b64 exec, exec, s[4:5]
	s_and_saveexec_b64 s[4:5], s[42:43]
	s_cbranch_execnz .LBB14_182
.LBB14_252:
	s_or_b64 exec, exec, s[4:5]
	s_and_saveexec_b64 s[4:5], s[44:45]
	s_cbranch_execz .LBB14_183
.LBB14_253:
	v_lshlrev_b32_e32 v7, 3, v24
	ds_read_b64 v[24:25], v7
	v_lshlrev_b32_e32 v26, 1, v2
	ds_read_u16 v7, v26 offset:4608
	v_mov_b32_e32 v27, 0
	s_waitcnt lgkmcnt(1)
	v_lshl_add_u64 v[24:25], v[24:25], 1, s[74:75]
	v_lshl_add_u64 v[24:25], v[24:25], 0, v[26:27]
	s_waitcnt lgkmcnt(0)
	global_store_short v[24:25], v7, off offset:2560
	s_or_b64 exec, exec, s[4:5]
	s_and_saveexec_b64 s[4:5], s[46:47]
	s_cbranch_execnz .LBB14_184
.LBB14_254:
	s_or_b64 exec, exec, s[4:5]
	s_and_saveexec_b64 s[4:5], s[48:49]
	s_cbranch_execz .LBB14_185
.LBB14_255:
	v_lshlrev_b32_e32 v7, 3, v23
	ds_read_b64 v[24:25], v7
	v_lshlrev_b32_e32 v26, 1, v2
	ds_read_u16 v7, v26 offset:5632
	v_mov_b32_e32 v27, 0
	s_waitcnt lgkmcnt(1)
	v_lshl_add_u64 v[24:25], v[24:25], 1, s[74:75]
	v_lshl_add_u64 v[24:25], v[24:25], 0, v[26:27]
	s_waitcnt lgkmcnt(0)
	global_store_short v[24:25], v7, off offset:3584
	s_or_b64 exec, exec, s[4:5]
	s_and_saveexec_b64 s[4:5], s[50:51]
	s_cbranch_execnz .LBB14_186
.LBB14_256:
	s_or_b64 exec, exec, s[4:5]
	s_and_saveexec_b64 s[4:5], s[52:53]
	s_cbranch_execz .LBB14_187
.LBB14_257:
	v_lshlrev_b32_e32 v7, 3, v21
	ds_read_b64 v[24:25], v7
	v_lshlrev_b32_e32 v7, 1, v2
	ds_read_u16 v7, v7 offset:6656
	v_lshlrev_b32_e32 v26, 1, v12
	v_mov_b32_e32 v27, 0
	s_waitcnt lgkmcnt(1)
	v_lshl_add_u64 v[24:25], v[24:25], 1, s[74:75]
	v_lshl_add_u64 v[24:25], v[24:25], 0, v[26:27]
	s_waitcnt lgkmcnt(0)
	global_store_short v[24:25], v7, off
	s_or_b64 exec, exec, s[4:5]
	s_and_saveexec_b64 s[4:5], s[54:55]
	s_cbranch_execnz .LBB14_188
.LBB14_258:
	s_or_b64 exec, exec, s[4:5]
	s_and_saveexec_b64 s[4:5], s[56:57]
	s_cbranch_execz .LBB14_189
.LBB14_259:
	v_lshlrev_b32_e32 v7, 3, v14
	ds_read_b64 v[12:13], v7
	v_lshlrev_b32_e32 v7, 1, v2
	ds_read_u16 v7, v7 offset:7680
	v_lshlrev_b32_e32 v14, 1, v15
	v_mov_b32_e32 v15, 0
	s_waitcnt lgkmcnt(1)
	v_lshl_add_u64 v[12:13], v[12:13], 1, s[74:75]
	v_lshl_add_u64 v[12:13], v[12:13], 0, v[14:15]
	s_waitcnt lgkmcnt(0)
	global_store_short v[12:13], v7, off
	s_or_b64 exec, exec, s[4:5]
	s_and_saveexec_b64 s[4:5], s[58:59]
	s_cbranch_execnz .LBB14_190
.LBB14_260:
	s_or_b64 exec, exec, s[4:5]
	s_and_saveexec_b64 s[4:5], s[60:61]
	s_cbranch_execz .LBB14_191
.LBB14_261:
	v_lshlrev_b32_e32 v7, 3, v8
	ds_read_b64 v[12:13], v7
	v_lshlrev_b32_e32 v7, 1, v2
	ds_read_u16 v7, v7 offset:8704
	v_lshlrev_b32_e32 v14, 1, v17
	v_mov_b32_e32 v15, 0
	s_waitcnt lgkmcnt(1)
	v_lshl_add_u64 v[12:13], v[12:13], 1, s[74:75]
	v_lshl_add_u64 v[12:13], v[12:13], 0, v[14:15]
	s_waitcnt lgkmcnt(0)
	global_store_short v[12:13], v7, off
	s_or_b64 exec, exec, s[4:5]
	s_and_saveexec_b64 s[4:5], s[62:63]
	s_cbranch_execnz .LBB14_192
.LBB14_262:
	s_or_b64 exec, exec, s[4:5]
	s_and_saveexec_b64 s[4:5], s[64:65]
	s_cbranch_execz .LBB14_193
.LBB14_263:
	v_lshlrev_b32_e32 v3, 3, v3
	ds_read_b64 v[8:9], v3
	v_lshlrev_b32_e32 v2, 1, v2
	ds_read_u16 v7, v2 offset:9728
	v_lshlrev_b32_e32 v2, 1, v19
	v_mov_b32_e32 v3, 0
	s_waitcnt lgkmcnt(1)
	v_lshl_add_u64 v[8:9], v[8:9], 1, s[74:75]
	v_lshl_add_u64 v[2:3], v[8:9], 0, v[2:3]
	s_waitcnt lgkmcnt(0)
	global_store_short v[2:3], v7, off
	s_or_b64 exec, exec, s[4:5]
	s_add_i32 s33, s33, -1
	s_cmp_eq_u32 s2, s33
	s_cbranch_scc1 .LBB14_194
	s_branch .LBB14_195
	.section	.rodata,"a",@progbits
	.p2align	6, 0x0
	.amdhsa_kernel _ZN7rocprim17ROCPRIM_304000_NS6detail25onesweep_iteration_kernelINS1_34wrapped_radix_sort_onesweep_configINS0_14default_configEiN2at4cuda3cub6detail10OpaqueTypeILi2EEEEELb1EPKiPiPKSA_PSA_mNS0_19identity_decomposerEEEvT1_T2_T3_T4_jPT5_SO_PNS1_23onesweep_lookback_stateET6_jjj
		.amdhsa_group_segment_fixed_size 18432
		.amdhsa_private_segment_fixed_size 0
		.amdhsa_kernarg_size 336
		.amdhsa_user_sgpr_count 2
		.amdhsa_user_sgpr_dispatch_ptr 0
		.amdhsa_user_sgpr_queue_ptr 0
		.amdhsa_user_sgpr_kernarg_segment_ptr 1
		.amdhsa_user_sgpr_dispatch_id 0
		.amdhsa_user_sgpr_kernarg_preload_length 0
		.amdhsa_user_sgpr_kernarg_preload_offset 0
		.amdhsa_user_sgpr_private_segment_size 0
		.amdhsa_uses_dynamic_stack 0
		.amdhsa_enable_private_segment 0
		.amdhsa_system_sgpr_workgroup_id_x 1
		.amdhsa_system_sgpr_workgroup_id_y 0
		.amdhsa_system_sgpr_workgroup_id_z 0
		.amdhsa_system_sgpr_workgroup_info 0
		.amdhsa_system_vgpr_workitem_id 2
		.amdhsa_next_free_vgpr 79
		.amdhsa_next_free_sgpr 89
		.amdhsa_accum_offset 80
		.amdhsa_reserve_vcc 1
		.amdhsa_float_round_mode_32 0
		.amdhsa_float_round_mode_16_64 0
		.amdhsa_float_denorm_mode_32 3
		.amdhsa_float_denorm_mode_16_64 3
		.amdhsa_dx10_clamp 1
		.amdhsa_ieee_mode 1
		.amdhsa_fp16_overflow 0
		.amdhsa_tg_split 0
		.amdhsa_exception_fp_ieee_invalid_op 0
		.amdhsa_exception_fp_denorm_src 0
		.amdhsa_exception_fp_ieee_div_zero 0
		.amdhsa_exception_fp_ieee_overflow 0
		.amdhsa_exception_fp_ieee_underflow 0
		.amdhsa_exception_fp_ieee_inexact 0
		.amdhsa_exception_int_div_zero 0
	.end_amdhsa_kernel
	.section	.text._ZN7rocprim17ROCPRIM_304000_NS6detail25onesweep_iteration_kernelINS1_34wrapped_radix_sort_onesweep_configINS0_14default_configEiN2at4cuda3cub6detail10OpaqueTypeILi2EEEEELb1EPKiPiPKSA_PSA_mNS0_19identity_decomposerEEEvT1_T2_T3_T4_jPT5_SO_PNS1_23onesweep_lookback_stateET6_jjj,"axG",@progbits,_ZN7rocprim17ROCPRIM_304000_NS6detail25onesweep_iteration_kernelINS1_34wrapped_radix_sort_onesweep_configINS0_14default_configEiN2at4cuda3cub6detail10OpaqueTypeILi2EEEEELb1EPKiPiPKSA_PSA_mNS0_19identity_decomposerEEEvT1_T2_T3_T4_jPT5_SO_PNS1_23onesweep_lookback_stateET6_jjj,comdat
.Lfunc_end14:
	.size	_ZN7rocprim17ROCPRIM_304000_NS6detail25onesweep_iteration_kernelINS1_34wrapped_radix_sort_onesweep_configINS0_14default_configEiN2at4cuda3cub6detail10OpaqueTypeILi2EEEEELb1EPKiPiPKSA_PSA_mNS0_19identity_decomposerEEEvT1_T2_T3_T4_jPT5_SO_PNS1_23onesweep_lookback_stateET6_jjj, .Lfunc_end14-_ZN7rocprim17ROCPRIM_304000_NS6detail25onesweep_iteration_kernelINS1_34wrapped_radix_sort_onesweep_configINS0_14default_configEiN2at4cuda3cub6detail10OpaqueTypeILi2EEEEELb1EPKiPiPKSA_PSA_mNS0_19identity_decomposerEEEvT1_T2_T3_T4_jPT5_SO_PNS1_23onesweep_lookback_stateET6_jjj
                                        ; -- End function
	.set _ZN7rocprim17ROCPRIM_304000_NS6detail25onesweep_iteration_kernelINS1_34wrapped_radix_sort_onesweep_configINS0_14default_configEiN2at4cuda3cub6detail10OpaqueTypeILi2EEEEELb1EPKiPiPKSA_PSA_mNS0_19identity_decomposerEEEvT1_T2_T3_T4_jPT5_SO_PNS1_23onesweep_lookback_stateET6_jjj.num_vgpr, 79
	.set _ZN7rocprim17ROCPRIM_304000_NS6detail25onesweep_iteration_kernelINS1_34wrapped_radix_sort_onesweep_configINS0_14default_configEiN2at4cuda3cub6detail10OpaqueTypeILi2EEEEELb1EPKiPiPKSA_PSA_mNS0_19identity_decomposerEEEvT1_T2_T3_T4_jPT5_SO_PNS1_23onesweep_lookback_stateET6_jjj.num_agpr, 0
	.set _ZN7rocprim17ROCPRIM_304000_NS6detail25onesweep_iteration_kernelINS1_34wrapped_radix_sort_onesweep_configINS0_14default_configEiN2at4cuda3cub6detail10OpaqueTypeILi2EEEEELb1EPKiPiPKSA_PSA_mNS0_19identity_decomposerEEEvT1_T2_T3_T4_jPT5_SO_PNS1_23onesweep_lookback_stateET6_jjj.numbered_sgpr, 89
	.set _ZN7rocprim17ROCPRIM_304000_NS6detail25onesweep_iteration_kernelINS1_34wrapped_radix_sort_onesweep_configINS0_14default_configEiN2at4cuda3cub6detail10OpaqueTypeILi2EEEEELb1EPKiPiPKSA_PSA_mNS0_19identity_decomposerEEEvT1_T2_T3_T4_jPT5_SO_PNS1_23onesweep_lookback_stateET6_jjj.num_named_barrier, 0
	.set _ZN7rocprim17ROCPRIM_304000_NS6detail25onesweep_iteration_kernelINS1_34wrapped_radix_sort_onesweep_configINS0_14default_configEiN2at4cuda3cub6detail10OpaqueTypeILi2EEEEELb1EPKiPiPKSA_PSA_mNS0_19identity_decomposerEEEvT1_T2_T3_T4_jPT5_SO_PNS1_23onesweep_lookback_stateET6_jjj.private_seg_size, 0
	.set _ZN7rocprim17ROCPRIM_304000_NS6detail25onesweep_iteration_kernelINS1_34wrapped_radix_sort_onesweep_configINS0_14default_configEiN2at4cuda3cub6detail10OpaqueTypeILi2EEEEELb1EPKiPiPKSA_PSA_mNS0_19identity_decomposerEEEvT1_T2_T3_T4_jPT5_SO_PNS1_23onesweep_lookback_stateET6_jjj.uses_vcc, 1
	.set _ZN7rocprim17ROCPRIM_304000_NS6detail25onesweep_iteration_kernelINS1_34wrapped_radix_sort_onesweep_configINS0_14default_configEiN2at4cuda3cub6detail10OpaqueTypeILi2EEEEELb1EPKiPiPKSA_PSA_mNS0_19identity_decomposerEEEvT1_T2_T3_T4_jPT5_SO_PNS1_23onesweep_lookback_stateET6_jjj.uses_flat_scratch, 0
	.set _ZN7rocprim17ROCPRIM_304000_NS6detail25onesweep_iteration_kernelINS1_34wrapped_radix_sort_onesweep_configINS0_14default_configEiN2at4cuda3cub6detail10OpaqueTypeILi2EEEEELb1EPKiPiPKSA_PSA_mNS0_19identity_decomposerEEEvT1_T2_T3_T4_jPT5_SO_PNS1_23onesweep_lookback_stateET6_jjj.has_dyn_sized_stack, 0
	.set _ZN7rocprim17ROCPRIM_304000_NS6detail25onesweep_iteration_kernelINS1_34wrapped_radix_sort_onesweep_configINS0_14default_configEiN2at4cuda3cub6detail10OpaqueTypeILi2EEEEELb1EPKiPiPKSA_PSA_mNS0_19identity_decomposerEEEvT1_T2_T3_T4_jPT5_SO_PNS1_23onesweep_lookback_stateET6_jjj.has_recursion, 0
	.set _ZN7rocprim17ROCPRIM_304000_NS6detail25onesweep_iteration_kernelINS1_34wrapped_radix_sort_onesweep_configINS0_14default_configEiN2at4cuda3cub6detail10OpaqueTypeILi2EEEEELb1EPKiPiPKSA_PSA_mNS0_19identity_decomposerEEEvT1_T2_T3_T4_jPT5_SO_PNS1_23onesweep_lookback_stateET6_jjj.has_indirect_call, 0
	.section	.AMDGPU.csdata,"",@progbits
; Kernel info:
; codeLenInByte = 24668
; TotalNumSgprs: 95
; NumVgprs: 79
; NumAgprs: 0
; TotalNumVgprs: 79
; ScratchSize: 0
; MemoryBound: 0
; FloatMode: 240
; IeeeMode: 1
; LDSByteSize: 18432 bytes/workgroup (compile time only)
; SGPRBlocks: 11
; VGPRBlocks: 9
; NumSGPRsForWavesPerEU: 95
; NumVGPRsForWavesPerEU: 79
; AccumOffset: 80
; Occupancy: 6
; WaveLimiterHint : 1
; COMPUTE_PGM_RSRC2:SCRATCH_EN: 0
; COMPUTE_PGM_RSRC2:USER_SGPR: 2
; COMPUTE_PGM_RSRC2:TRAP_HANDLER: 0
; COMPUTE_PGM_RSRC2:TGID_X_EN: 1
; COMPUTE_PGM_RSRC2:TGID_Y_EN: 0
; COMPUTE_PGM_RSRC2:TGID_Z_EN: 0
; COMPUTE_PGM_RSRC2:TIDIG_COMP_CNT: 2
; COMPUTE_PGM_RSRC3_GFX90A:ACCUM_OFFSET: 19
; COMPUTE_PGM_RSRC3_GFX90A:TG_SPLIT: 0
	.section	.text._ZN7rocprim17ROCPRIM_304000_NS6detail25onesweep_iteration_kernelINS1_34wrapped_radix_sort_onesweep_configINS0_14default_configEiN2at4cuda3cub6detail10OpaqueTypeILi2EEEEELb1EPiSC_PSA_SD_mNS0_19identity_decomposerEEEvT1_T2_T3_T4_jPT5_SK_PNS1_23onesweep_lookback_stateET6_jjj,"axG",@progbits,_ZN7rocprim17ROCPRIM_304000_NS6detail25onesweep_iteration_kernelINS1_34wrapped_radix_sort_onesweep_configINS0_14default_configEiN2at4cuda3cub6detail10OpaqueTypeILi2EEEEELb1EPiSC_PSA_SD_mNS0_19identity_decomposerEEEvT1_T2_T3_T4_jPT5_SK_PNS1_23onesweep_lookback_stateET6_jjj,comdat
	.protected	_ZN7rocprim17ROCPRIM_304000_NS6detail25onesweep_iteration_kernelINS1_34wrapped_radix_sort_onesweep_configINS0_14default_configEiN2at4cuda3cub6detail10OpaqueTypeILi2EEEEELb1EPiSC_PSA_SD_mNS0_19identity_decomposerEEEvT1_T2_T3_T4_jPT5_SK_PNS1_23onesweep_lookback_stateET6_jjj ; -- Begin function _ZN7rocprim17ROCPRIM_304000_NS6detail25onesweep_iteration_kernelINS1_34wrapped_radix_sort_onesweep_configINS0_14default_configEiN2at4cuda3cub6detail10OpaqueTypeILi2EEEEELb1EPiSC_PSA_SD_mNS0_19identity_decomposerEEEvT1_T2_T3_T4_jPT5_SK_PNS1_23onesweep_lookback_stateET6_jjj
	.globl	_ZN7rocprim17ROCPRIM_304000_NS6detail25onesweep_iteration_kernelINS1_34wrapped_radix_sort_onesweep_configINS0_14default_configEiN2at4cuda3cub6detail10OpaqueTypeILi2EEEEELb1EPiSC_PSA_SD_mNS0_19identity_decomposerEEEvT1_T2_T3_T4_jPT5_SK_PNS1_23onesweep_lookback_stateET6_jjj
	.p2align	8
	.type	_ZN7rocprim17ROCPRIM_304000_NS6detail25onesweep_iteration_kernelINS1_34wrapped_radix_sort_onesweep_configINS0_14default_configEiN2at4cuda3cub6detail10OpaqueTypeILi2EEEEELb1EPiSC_PSA_SD_mNS0_19identity_decomposerEEEvT1_T2_T3_T4_jPT5_SK_PNS1_23onesweep_lookback_stateET6_jjj,@function
_ZN7rocprim17ROCPRIM_304000_NS6detail25onesweep_iteration_kernelINS1_34wrapped_radix_sort_onesweep_configINS0_14default_configEiN2at4cuda3cub6detail10OpaqueTypeILi2EEEEELb1EPiSC_PSA_SD_mNS0_19identity_decomposerEEEvT1_T2_T3_T4_jPT5_SK_PNS1_23onesweep_lookback_stateET6_jjj: ; @_ZN7rocprim17ROCPRIM_304000_NS6detail25onesweep_iteration_kernelINS1_34wrapped_radix_sort_onesweep_configINS0_14default_configEiN2at4cuda3cub6detail10OpaqueTypeILi2EEEEELb1EPiSC_PSA_SD_mNS0_19identity_decomposerEEEvT1_T2_T3_T4_jPT5_SK_PNS1_23onesweep_lookback_stateET6_jjj
; %bb.0:
	s_load_dwordx8 s[68:75], s[0:1], 0x0
	s_load_dwordx4 s[80:83], s[0:1], 0x44
	s_load_dwordx4 s[76:79], s[0:1], 0x28
	s_load_dwordx2 s[84:85], s[0:1], 0x38
	s_mov_b32 s3, s2
	s_mov_b64 s[4:5], -1
	s_waitcnt lgkmcnt(0)
	s_cmp_ge_u32 s2, s82
	v_mbcnt_lo_u32_b32 v1, -1, 0
	s_cbranch_scc0 .LBB15_196
; %bb.1:
	s_load_dword s4, s[0:1], 0x20
	s_lshl_b32 s5, s82, 12
	s_lshl_b32 s82, s2, 12
	s_mov_b32 s83, 0
	v_and_b32_e32 v2, 0x3ff, v0
	s_waitcnt lgkmcnt(0)
	s_sub_i32 s86, s4, s5
	s_lshl_b64 s[4:5], s[82:83], 2
	s_add_u32 s4, s68, s4
	v_mbcnt_hi_u32_b32 v14, -1, v1
	v_lshlrev_b32_e32 v3, 4, v2
	s_addc_u32 s5, s69, s5
	v_and_b32_e32 v3, 0xc00, v3
	v_mov_b32_e32 v5, 0
	v_lshlrev_b32_e32 v4, 2, v14
	v_lshl_add_u64 v[6:7], s[4:5], 0, v[4:5]
	v_lshlrev_b32_e32 v4, 2, v3
	v_lshl_add_u64 v[4:5], v[6:7], 0, v[4:5]
	v_or_b32_e32 v6, v14, v3
	v_mov_b32_e32 v8, -1
	v_cmp_gt_u32_e32 vcc, s86, v6
	v_mov_b32_e32 v9, -1
	s_and_saveexec_b64 s[4:5], vcc
	s_cbranch_execz .LBB15_3
; %bb.2:
	global_load_dword v7, v[4:5], off
	s_waitcnt vmcnt(0)
	v_xor_b32_e32 v9, 0x7fffffff, v7
.LBB15_3:
	s_or_b64 exec, exec, s[4:5]
	v_add_u32_e32 v7, 64, v6
	v_cmp_gt_u32_e64 s[66:67], s86, v7
	s_and_saveexec_b64 s[4:5], s[66:67]
	s_cbranch_execz .LBB15_5
; %bb.4:
	global_load_dword v7, v[4:5], off offset:256
	s_waitcnt vmcnt(0)
	v_xor_b32_e32 v8, 0x7fffffff, v7
.LBB15_5:
	s_or_b64 exec, exec, s[4:5]
	v_add_u32_e32 v7, 0x80, v6
	v_cmp_gt_u32_e64 s[4:5], s86, v7
	v_mov_b32_e32 v10, -1
	v_mov_b32_e32 v11, -1
	s_and_saveexec_b64 s[6:7], s[4:5]
	s_cbranch_execz .LBB15_7
; %bb.6:
	global_load_dword v7, v[4:5], off offset:512
	s_waitcnt vmcnt(0)
	v_xor_b32_e32 v11, 0x7fffffff, v7
.LBB15_7:
	s_or_b64 exec, exec, s[6:7]
	v_add_u32_e32 v7, 0xc0, v6
	v_cmp_gt_u32_e64 s[6:7], s86, v7
	s_and_saveexec_b64 s[8:9], s[6:7]
	s_cbranch_execz .LBB15_9
; %bb.8:
	global_load_dword v7, v[4:5], off offset:768
	s_waitcnt vmcnt(0)
	v_xor_b32_e32 v10, 0x7fffffff, v7
.LBB15_9:
	s_or_b64 exec, exec, s[8:9]
	v_add_u32_e32 v7, 0x100, v6
	v_cmp_gt_u32_e64 s[8:9], s86, v7
	v_mov_b32_e32 v12, -1
	v_mov_b32_e32 v13, -1
	s_and_saveexec_b64 s[10:11], s[8:9]
	s_cbranch_execz .LBB15_11
; %bb.10:
	global_load_dword v7, v[4:5], off offset:1024
	s_waitcnt vmcnt(0)
	v_xor_b32_e32 v13, 0x7fffffff, v7
.LBB15_11:
	s_or_b64 exec, exec, s[10:11]
	v_add_u32_e32 v7, 0x140, v6
	v_cmp_gt_u32_e64 s[10:11], s86, v7
	s_and_saveexec_b64 s[12:13], s[10:11]
	s_cbranch_execz .LBB15_13
; %bb.12:
	global_load_dword v7, v[4:5], off offset:1280
	s_waitcnt vmcnt(0)
	v_xor_b32_e32 v12, 0x7fffffff, v7
.LBB15_13:
	s_or_b64 exec, exec, s[12:13]
	v_add_u32_e32 v7, 0x180, v6
	v_cmp_gt_u32_e64 s[12:13], s86, v7
	v_mov_b32_e32 v15, -1
	v_mov_b32_e32 v16, -1
	s_and_saveexec_b64 s[14:15], s[12:13]
	s_cbranch_execz .LBB15_15
; %bb.14:
	global_load_dword v7, v[4:5], off offset:1536
	s_waitcnt vmcnt(0)
	v_xor_b32_e32 v16, 0x7fffffff, v7
.LBB15_15:
	s_or_b64 exec, exec, s[14:15]
	v_add_u32_e32 v7, 0x1c0, v6
	v_cmp_gt_u32_e64 s[14:15], s86, v7
	s_and_saveexec_b64 s[16:17], s[14:15]
	s_cbranch_execz .LBB15_17
; %bb.16:
	global_load_dword v7, v[4:5], off offset:1792
	s_waitcnt vmcnt(0)
	v_xor_b32_e32 v15, 0x7fffffff, v7
.LBB15_17:
	s_or_b64 exec, exec, s[16:17]
	v_add_u32_e32 v7, 0x200, v6
	v_cmp_gt_u32_e64 s[16:17], s86, v7
	v_mov_b32_e32 v17, -1
	v_mov_b32_e32 v18, -1
	s_and_saveexec_b64 s[18:19], s[16:17]
	s_cbranch_execz .LBB15_19
; %bb.18:
	global_load_dword v7, v[4:5], off offset:2048
	s_waitcnt vmcnt(0)
	v_xor_b32_e32 v18, 0x7fffffff, v7
.LBB15_19:
	s_or_b64 exec, exec, s[18:19]
	v_add_u32_e32 v7, 0x240, v6
	v_cmp_gt_u32_e64 s[18:19], s86, v7
	s_and_saveexec_b64 s[20:21], s[18:19]
	s_cbranch_execz .LBB15_21
; %bb.20:
	global_load_dword v7, v[4:5], off offset:2304
	s_waitcnt vmcnt(0)
	v_xor_b32_e32 v17, 0x7fffffff, v7
.LBB15_21:
	s_or_b64 exec, exec, s[20:21]
	v_add_u32_e32 v7, 0x280, v6
	v_cmp_gt_u32_e64 s[20:21], s86, v7
	v_mov_b32_e32 v19, -1
	v_mov_b32_e32 v20, -1
	s_and_saveexec_b64 s[22:23], s[20:21]
	s_cbranch_execz .LBB15_23
; %bb.22:
	global_load_dword v7, v[4:5], off offset:2560
	s_waitcnt vmcnt(0)
	v_xor_b32_e32 v20, 0x7fffffff, v7
.LBB15_23:
	s_or_b64 exec, exec, s[22:23]
	v_add_u32_e32 v7, 0x2c0, v6
	v_cmp_gt_u32_e64 s[22:23], s86, v7
	s_and_saveexec_b64 s[24:25], s[22:23]
	s_cbranch_execz .LBB15_25
; %bb.24:
	global_load_dword v7, v[4:5], off offset:2816
	s_waitcnt vmcnt(0)
	v_xor_b32_e32 v19, 0x7fffffff, v7
.LBB15_25:
	s_or_b64 exec, exec, s[24:25]
	v_add_u32_e32 v7, 0x300, v6
	v_cmp_gt_u32_e64 s[24:25], s86, v7
	v_mov_b32_e32 v21, -1
	v_mov_b32_e32 v22, -1
	s_and_saveexec_b64 s[26:27], s[24:25]
	s_cbranch_execz .LBB15_27
; %bb.26:
	global_load_dword v7, v[4:5], off offset:3072
	s_waitcnt vmcnt(0)
	v_xor_b32_e32 v22, 0x7fffffff, v7
.LBB15_27:
	s_or_b64 exec, exec, s[26:27]
	v_add_u32_e32 v7, 0x340, v6
	v_cmp_gt_u32_e64 s[26:27], s86, v7
	s_and_saveexec_b64 s[28:29], s[26:27]
	s_cbranch_execz .LBB15_29
; %bb.28:
	global_load_dword v7, v[4:5], off offset:3328
	s_waitcnt vmcnt(0)
	v_xor_b32_e32 v21, 0x7fffffff, v7
.LBB15_29:
	s_or_b64 exec, exec, s[28:29]
	v_add_u32_e32 v7, 0x380, v6
	v_cmp_gt_u32_e64 s[28:29], s86, v7
	v_mov_b32_e32 v23, -1
	v_mov_b32_e32 v24, -1
	s_and_saveexec_b64 s[30:31], s[28:29]
	s_cbranch_execz .LBB15_31
; %bb.30:
	global_load_dword v7, v[4:5], off offset:3584
	s_waitcnt vmcnt(0)
	v_xor_b32_e32 v24, 0x7fffffff, v7
.LBB15_31:
	s_or_b64 exec, exec, s[30:31]
	v_add_u32_e32 v6, 0x3c0, v6
	v_cmp_gt_u32_e64 s[30:31], s86, v6
	s_and_saveexec_b64 s[34:35], s[30:31]
	s_cbranch_execz .LBB15_33
; %bb.32:
	global_load_dword v4, v[4:5], off offset:3840
	s_waitcnt vmcnt(0)
	v_xor_b32_e32 v23, 0x7fffffff, v4
.LBB15_33:
	s_or_b64 exec, exec, s[34:35]
	s_load_dword s34, s[0:1], 0x5c
	s_load_dword s33, s[0:1], 0x50
	s_add_u32 s35, s0, 0x50
	s_addc_u32 s36, s1, 0
	v_mov_b32_e32 v5, 0
	s_waitcnt lgkmcnt(0)
	s_lshr_b32 s37, s34, 16
	s_cmp_lt_u32 s2, s33
	s_cselect_b32 s34, 12, 18
	s_add_u32 s34, s35, s34
	s_addc_u32 s35, s36, 0
	global_load_ushort v40, v5, s[34:35]
	v_lshrrev_b32_e32 v27, s80, v9
	s_lshl_b32 s34, -1, s81
	v_bfe_u32 v4, v0, 10, 10
	v_bfe_u32 v7, v0, 20, 10
	v_bitop3_b32 v37, v27, s34, v27 bitop3:0x30
	v_mad_u32_u24 v41, v7, s37, v4
	v_and_b32_e32 v4, 1, v37
	v_lshlrev_b32_e32 v7, 30, v37
	v_mov_b32_e32 v6, v5
	v_mov_b32_e32 v28, v5
	s_not_b32 s88, s34
	v_lshlrev_b32_e32 v27, 29, v37
	v_lshlrev_b32_e32 v29, 28, v37
	v_lshl_add_u64 v[38:39], v[4:5], 0, -1
	v_cmp_ne_u32_e64 s[34:35], 0, v4
	v_not_b32_e32 v4, v7
	v_mov_b32_e32 v26, v5
	v_mov_b32_e32 v30, v5
	v_lshlrev_b32_e32 v31, 27, v37
	v_cmp_gt_i64_e64 s[36:37], 0, v[6:7]
	v_not_b32_e32 v6, v27
	v_cmp_gt_i64_e64 s[40:41], 0, v[28:29]
	v_not_b32_e32 v7, v29
	v_xor_b32_e32 v29, s35, v39
	v_ashrrev_i32_e32 v4, 31, v4
	v_mov_b32_e32 v32, v5
	v_lshlrev_b32_e32 v33, 26, v37
	v_cmp_gt_i64_e64 s[38:39], 0, v[26:27]
	v_cmp_gt_i64_e64 s[42:43], 0, v[30:31]
	v_not_b32_e32 v26, v31
	v_xor_b32_e32 v30, s34, v38
	v_ashrrev_i32_e32 v6, 31, v6
	v_and_b32_e32 v29, exec_hi, v29
	v_xor_b32_e32 v31, s37, v4
	v_cmp_gt_i64_e64 s[44:45], 0, v[32:33]
	v_ashrrev_i32_e32 v7, 31, v7
	v_and_b32_e32 v30, exec_lo, v30
	v_xor_b32_e32 v4, s36, v4
	v_xor_b32_e32 v32, s39, v6
	v_and_b32_e32 v29, v29, v31
	v_mov_b32_e32 v34, v5
	v_lshlrev_b32_e32 v35, 25, v37
	v_not_b32_e32 v27, v33
	v_ashrrev_i32_e32 v26, 31, v26
	v_xor_b32_e32 v6, s38, v6
	v_xor_b32_e32 v33, s41, v7
	v_and_b32_e32 v4, v30, v4
	v_and_b32_e32 v29, v29, v32
	v_cmp_gt_i64_e64 s[46:47], 0, v[34:35]
	v_not_b32_e32 v28, v35
	v_ashrrev_i32_e32 v27, 31, v27
	v_xor_b32_e32 v34, s43, v26
	v_and_b32_e32 v4, v4, v6
	v_and_b32_e32 v6, v29, v33
	v_ashrrev_i32_e32 v28, 31, v28
	v_xor_b32_e32 v7, s40, v7
	v_xor_b32_e32 v35, s45, v27
	v_and_b32_e32 v6, v6, v34
	v_xor_b32_e32 v26, s42, v26
	v_xor_b32_e32 v38, s47, v28
	v_and_b32_e32 v4, v4, v7
	v_and_b32_e32 v6, v6, v35
	v_mul_lo_u32 v42, v37, 20
	v_lshlrev_b32_e32 v37, 24, v37
	v_and_b32_e32 v4, v4, v26
	v_and_b32_e32 v26, v6, v38
	v_mov_b32_e32 v36, v5
	v_xor_b32_e32 v27, s44, v27
	v_xor_b32_e32 v28, s46, v28
	v_and_b32_e32 v4, v4, v27
	v_and_b32_e32 v4, v4, v28
	v_mul_u32_u24_e32 v25, 20, v2
	ds_write2_b32 v25, v5, v5 offset0:4 offset1:5
	ds_write2_b32 v25, v5, v5 offset0:6 offset1:7
	ds_write_b32 v25, v5 offset:32
	s_waitcnt lgkmcnt(0)
	s_barrier
	s_waitcnt vmcnt(0)
	; wave barrier
	v_mad_u64_u32 v[6:7], s[34:35], v41, v40, v[2:3]
	v_lshrrev_b32_e32 v35, 6, v6
	v_not_b32_e32 v6, v37
	v_cmp_gt_i64_e64 s[34:35], 0, v[36:37]
	v_ashrrev_i32_e32 v6, 31, v6
	v_lshl_add_u32 v27, v35, 2, v42
	v_xor_b32_e32 v7, s35, v6
	v_xor_b32_e32 v6, s34, v6
	v_and_b32_e32 v6, v4, v6
	v_and_b32_e32 v7, v26, v7
	v_mbcnt_lo_u32_b32 v4, v6, 0
	v_mbcnt_hi_u32_b32 v26, v7, v4
	v_cmp_eq_u32_e64 s[34:35], 0, v26
	v_cmp_ne_u64_e64 s[36:37], 0, v[6:7]
	s_and_b64 s[36:37], s[36:37], s[34:35]
	s_and_saveexec_b64 s[34:35], s[36:37]
; %bb.34:
	v_bcnt_u32_b32 v4, v6, 0
	v_bcnt_u32_b32 v4, v7, v4
	ds_write_b32 v27, v4 offset:16
; %bb.35:
	s_or_b64 exec, exec, s[34:35]
	v_lshrrev_b32_e32 v4, s80, v8
	v_and_b32_e32 v30, s88, v4
	v_mul_lo_u32 v4, v30, 20
	v_lshl_add_u32 v29, v35, 2, v4
	v_and_b32_e32 v4, 1, v30
	v_lshl_add_u64 v[6:7], v[4:5], 0, -1
	v_cmp_ne_u32_e64 s[34:35], 0, v4
	; wave barrier
	s_nop 1
	v_xor_b32_e32 v6, s34, v6
	v_xor_b32_e32 v4, s35, v7
	v_and_b32_e32 v31, exec_lo, v6
	v_lshlrev_b32_e32 v7, 30, v30
	v_mov_b32_e32 v6, v5
	v_cmp_gt_i64_e64 s[34:35], 0, v[6:7]
	v_not_b32_e32 v6, v7
	v_ashrrev_i32_e32 v6, 31, v6
	v_and_b32_e32 v4, exec_hi, v4
	v_xor_b32_e32 v7, s35, v6
	v_xor_b32_e32 v6, s34, v6
	v_and_b32_e32 v4, v4, v7
	v_and_b32_e32 v31, v31, v6
	v_lshlrev_b32_e32 v7, 29, v30
	v_mov_b32_e32 v6, v5
	v_cmp_gt_i64_e64 s[34:35], 0, v[6:7]
	v_not_b32_e32 v6, v7
	v_ashrrev_i32_e32 v6, 31, v6
	v_xor_b32_e32 v7, s35, v6
	v_xor_b32_e32 v6, s34, v6
	v_and_b32_e32 v4, v4, v7
	v_and_b32_e32 v31, v31, v6
	v_lshlrev_b32_e32 v7, 28, v30
	v_mov_b32_e32 v6, v5
	v_cmp_gt_i64_e64 s[34:35], 0, v[6:7]
	v_not_b32_e32 v6, v7
	v_ashrrev_i32_e32 v6, 31, v6
	;; [unrolled: 9-line block ×5, first 2 shown]
	v_xor_b32_e32 v7, s35, v6
	v_xor_b32_e32 v6, s34, v6
	v_and_b32_e32 v4, v4, v7
	v_lshlrev_b32_e32 v7, 24, v30
	v_and_b32_e32 v31, v31, v6
	v_mov_b32_e32 v6, v5
	v_not_b32_e32 v5, v7
	v_cmp_gt_i64_e64 s[34:35], 0, v[6:7]
	v_ashrrev_i32_e32 v5, 31, v5
	ds_read_b32 v28, v29 offset:16
	v_xor_b32_e32 v6, s35, v5
	v_xor_b32_e32 v7, s34, v5
	v_and_b32_e32 v5, v4, v6
	v_and_b32_e32 v4, v31, v7
	v_mbcnt_lo_u32_b32 v6, v4, 0
	v_mbcnt_hi_u32_b32 v30, v5, v6
	v_cmp_eq_u32_e64 s[34:35], 0, v30
	v_cmp_ne_u64_e64 s[36:37], 0, v[4:5]
	s_and_b64 s[36:37], s[36:37], s[34:35]
	; wave barrier
	s_and_saveexec_b64 s[34:35], s[36:37]
	s_cbranch_execz .LBB15_37
; %bb.36:
	v_bcnt_u32_b32 v4, v4, 0
	v_bcnt_u32_b32 v4, v5, v4
	s_waitcnt lgkmcnt(0)
	v_add_u32_e32 v4, v28, v4
	ds_write_b32 v29, v4 offset:16
.LBB15_37:
	s_or_b64 exec, exec, s[34:35]
	v_lshrrev_b32_e32 v4, s80, v11
	v_and_b32_e32 v33, s88, v4
	v_mul_lo_u32 v4, v33, 20
	v_lshl_add_u32 v32, v35, 2, v4
	v_and_b32_e32 v4, 1, v33
	v_mov_b32_e32 v5, 0
	v_lshl_add_u64 v[6:7], v[4:5], 0, -1
	v_cmp_ne_u32_e64 s[34:35], 0, v4
	; wave barrier
	s_nop 1
	v_xor_b32_e32 v6, s34, v6
	v_xor_b32_e32 v4, s35, v7
	v_and_b32_e32 v34, exec_lo, v6
	v_lshlrev_b32_e32 v7, 30, v33
	v_mov_b32_e32 v6, v5
	v_cmp_gt_i64_e64 s[34:35], 0, v[6:7]
	v_not_b32_e32 v6, v7
	v_ashrrev_i32_e32 v6, 31, v6
	v_and_b32_e32 v4, exec_hi, v4
	v_xor_b32_e32 v7, s35, v6
	v_xor_b32_e32 v6, s34, v6
	v_and_b32_e32 v4, v4, v7
	v_and_b32_e32 v34, v34, v6
	v_lshlrev_b32_e32 v7, 29, v33
	v_mov_b32_e32 v6, v5
	v_cmp_gt_i64_e64 s[34:35], 0, v[6:7]
	v_not_b32_e32 v6, v7
	v_ashrrev_i32_e32 v6, 31, v6
	v_xor_b32_e32 v7, s35, v6
	v_xor_b32_e32 v6, s34, v6
	v_and_b32_e32 v4, v4, v7
	v_and_b32_e32 v34, v34, v6
	v_lshlrev_b32_e32 v7, 28, v33
	v_mov_b32_e32 v6, v5
	v_cmp_gt_i64_e64 s[34:35], 0, v[6:7]
	v_not_b32_e32 v6, v7
	v_ashrrev_i32_e32 v6, 31, v6
	;; [unrolled: 9-line block ×6, first 2 shown]
	v_xor_b32_e32 v7, s35, v6
	v_xor_b32_e32 v6, s34, v6
	ds_read_b32 v31, v32 offset:16
	v_and_b32_e32 v6, v34, v6
	v_and_b32_e32 v7, v4, v7
	v_mbcnt_lo_u32_b32 v4, v6, 0
	v_mbcnt_hi_u32_b32 v33, v7, v4
	v_cmp_eq_u32_e64 s[34:35], 0, v33
	v_cmp_ne_u64_e64 s[36:37], 0, v[6:7]
	s_and_b64 s[36:37], s[36:37], s[34:35]
	; wave barrier
	s_and_saveexec_b64 s[34:35], s[36:37]
	s_cbranch_execz .LBB15_39
; %bb.38:
	v_bcnt_u32_b32 v4, v6, 0
	v_bcnt_u32_b32 v4, v7, v4
	s_waitcnt lgkmcnt(0)
	v_add_u32_e32 v4, v31, v4
	ds_write_b32 v32, v4 offset:16
.LBB15_39:
	s_or_b64 exec, exec, s[34:35]
	v_lshrrev_b32_e32 v4, s80, v10
	v_and_b32_e32 v37, s88, v4
	v_mul_lo_u32 v4, v37, 20
	v_lshl_add_u32 v36, v35, 2, v4
	v_and_b32_e32 v4, 1, v37
	v_lshl_add_u64 v[6:7], v[4:5], 0, -1
	v_cmp_ne_u32_e64 s[34:35], 0, v4
	; wave barrier
	s_nop 1
	v_xor_b32_e32 v6, s34, v6
	v_xor_b32_e32 v4, s35, v7
	v_and_b32_e32 v38, exec_lo, v6
	v_lshlrev_b32_e32 v7, 30, v37
	v_mov_b32_e32 v6, v5
	v_cmp_gt_i64_e64 s[34:35], 0, v[6:7]
	v_not_b32_e32 v6, v7
	v_ashrrev_i32_e32 v6, 31, v6
	v_and_b32_e32 v4, exec_hi, v4
	v_xor_b32_e32 v7, s35, v6
	v_xor_b32_e32 v6, s34, v6
	v_and_b32_e32 v4, v4, v7
	v_and_b32_e32 v38, v38, v6
	v_lshlrev_b32_e32 v7, 29, v37
	v_mov_b32_e32 v6, v5
	v_cmp_gt_i64_e64 s[34:35], 0, v[6:7]
	v_not_b32_e32 v6, v7
	v_ashrrev_i32_e32 v6, 31, v6
	v_xor_b32_e32 v7, s35, v6
	v_xor_b32_e32 v6, s34, v6
	v_and_b32_e32 v4, v4, v7
	v_and_b32_e32 v38, v38, v6
	v_lshlrev_b32_e32 v7, 28, v37
	v_mov_b32_e32 v6, v5
	v_cmp_gt_i64_e64 s[34:35], 0, v[6:7]
	v_not_b32_e32 v6, v7
	v_ashrrev_i32_e32 v6, 31, v6
	v_xor_b32_e32 v7, s35, v6
	v_xor_b32_e32 v6, s34, v6
	v_and_b32_e32 v4, v4, v7
	v_and_b32_e32 v38, v38, v6
	v_lshlrev_b32_e32 v7, 27, v37
	v_mov_b32_e32 v6, v5
	v_cmp_gt_i64_e64 s[34:35], 0, v[6:7]
	v_not_b32_e32 v6, v7
	v_ashrrev_i32_e32 v6, 31, v6
	v_xor_b32_e32 v7, s35, v6
	v_xor_b32_e32 v6, s34, v6
	v_and_b32_e32 v4, v4, v7
	v_and_b32_e32 v38, v38, v6
	v_lshlrev_b32_e32 v7, 26, v37
	v_mov_b32_e32 v6, v5
	v_cmp_gt_i64_e64 s[34:35], 0, v[6:7]
	v_not_b32_e32 v6, v7
	v_ashrrev_i32_e32 v6, 31, v6
	v_xor_b32_e32 v7, s35, v6
	v_xor_b32_e32 v6, s34, v6
	v_and_b32_e32 v4, v4, v7
	v_and_b32_e32 v38, v38, v6
	v_lshlrev_b32_e32 v7, 25, v37
	v_mov_b32_e32 v6, v5
	v_cmp_gt_i64_e64 s[34:35], 0, v[6:7]
	v_not_b32_e32 v6, v7
	v_ashrrev_i32_e32 v6, 31, v6
	v_xor_b32_e32 v7, s35, v6
	v_xor_b32_e32 v6, s34, v6
	v_and_b32_e32 v4, v4, v7
	v_lshlrev_b32_e32 v7, 24, v37
	v_and_b32_e32 v38, v38, v6
	v_mov_b32_e32 v6, v5
	v_not_b32_e32 v5, v7
	v_cmp_gt_i64_e64 s[34:35], 0, v[6:7]
	v_ashrrev_i32_e32 v5, 31, v5
	ds_read_b32 v34, v36 offset:16
	v_xor_b32_e32 v6, s35, v5
	v_xor_b32_e32 v7, s34, v5
	v_and_b32_e32 v5, v4, v6
	v_and_b32_e32 v4, v38, v7
	v_mbcnt_lo_u32_b32 v6, v4, 0
	v_mbcnt_hi_u32_b32 v37, v5, v6
	v_cmp_eq_u32_e64 s[34:35], 0, v37
	v_cmp_ne_u64_e64 s[36:37], 0, v[4:5]
	s_and_b64 s[36:37], s[36:37], s[34:35]
	; wave barrier
	s_and_saveexec_b64 s[34:35], s[36:37]
	s_cbranch_execz .LBB15_41
; %bb.40:
	v_bcnt_u32_b32 v4, v4, 0
	v_bcnt_u32_b32 v4, v5, v4
	s_waitcnt lgkmcnt(0)
	v_add_u32_e32 v4, v34, v4
	ds_write_b32 v36, v4 offset:16
.LBB15_41:
	s_or_b64 exec, exec, s[34:35]
	v_lshrrev_b32_e32 v4, s80, v13
	v_and_b32_e32 v40, s88, v4
	v_mul_lo_u32 v4, v40, 20
	v_lshl_add_u32 v39, v35, 2, v4
	v_and_b32_e32 v4, 1, v40
	v_mov_b32_e32 v5, 0
	v_lshl_add_u64 v[6:7], v[4:5], 0, -1
	v_cmp_ne_u32_e64 s[34:35], 0, v4
	; wave barrier
	s_nop 1
	v_xor_b32_e32 v6, s34, v6
	v_xor_b32_e32 v4, s35, v7
	v_and_b32_e32 v41, exec_lo, v6
	v_lshlrev_b32_e32 v7, 30, v40
	v_mov_b32_e32 v6, v5
	v_cmp_gt_i64_e64 s[34:35], 0, v[6:7]
	v_not_b32_e32 v6, v7
	v_ashrrev_i32_e32 v6, 31, v6
	v_and_b32_e32 v4, exec_hi, v4
	v_xor_b32_e32 v7, s35, v6
	v_xor_b32_e32 v6, s34, v6
	v_and_b32_e32 v4, v4, v7
	v_and_b32_e32 v41, v41, v6
	v_lshlrev_b32_e32 v7, 29, v40
	v_mov_b32_e32 v6, v5
	v_cmp_gt_i64_e64 s[34:35], 0, v[6:7]
	v_not_b32_e32 v6, v7
	v_ashrrev_i32_e32 v6, 31, v6
	v_xor_b32_e32 v7, s35, v6
	v_xor_b32_e32 v6, s34, v6
	v_and_b32_e32 v4, v4, v7
	v_and_b32_e32 v41, v41, v6
	v_lshlrev_b32_e32 v7, 28, v40
	v_mov_b32_e32 v6, v5
	v_cmp_gt_i64_e64 s[34:35], 0, v[6:7]
	v_not_b32_e32 v6, v7
	v_ashrrev_i32_e32 v6, 31, v6
	;; [unrolled: 9-line block ×6, first 2 shown]
	v_xor_b32_e32 v7, s35, v6
	v_xor_b32_e32 v6, s34, v6
	ds_read_b32 v38, v39 offset:16
	v_and_b32_e32 v6, v41, v6
	v_and_b32_e32 v7, v4, v7
	v_mbcnt_lo_u32_b32 v4, v6, 0
	v_mbcnt_hi_u32_b32 v40, v7, v4
	v_cmp_eq_u32_e64 s[34:35], 0, v40
	v_cmp_ne_u64_e64 s[36:37], 0, v[6:7]
	s_and_b64 s[36:37], s[36:37], s[34:35]
	; wave barrier
	s_and_saveexec_b64 s[34:35], s[36:37]
	s_cbranch_execz .LBB15_43
; %bb.42:
	v_bcnt_u32_b32 v4, v6, 0
	v_bcnt_u32_b32 v4, v7, v4
	s_waitcnt lgkmcnt(0)
	v_add_u32_e32 v4, v38, v4
	ds_write_b32 v39, v4 offset:16
.LBB15_43:
	s_or_b64 exec, exec, s[34:35]
	v_lshrrev_b32_e32 v4, s80, v12
	v_and_b32_e32 v43, s88, v4
	v_mul_lo_u32 v4, v43, 20
	v_lshl_add_u32 v42, v35, 2, v4
	v_and_b32_e32 v4, 1, v43
	v_lshl_add_u64 v[6:7], v[4:5], 0, -1
	v_cmp_ne_u32_e64 s[34:35], 0, v4
	; wave barrier
	s_nop 1
	v_xor_b32_e32 v6, s34, v6
	v_xor_b32_e32 v4, s35, v7
	v_and_b32_e32 v44, exec_lo, v6
	v_lshlrev_b32_e32 v7, 30, v43
	v_mov_b32_e32 v6, v5
	v_cmp_gt_i64_e64 s[34:35], 0, v[6:7]
	v_not_b32_e32 v6, v7
	v_ashrrev_i32_e32 v6, 31, v6
	v_and_b32_e32 v4, exec_hi, v4
	v_xor_b32_e32 v7, s35, v6
	v_xor_b32_e32 v6, s34, v6
	v_and_b32_e32 v4, v4, v7
	v_and_b32_e32 v44, v44, v6
	v_lshlrev_b32_e32 v7, 29, v43
	v_mov_b32_e32 v6, v5
	v_cmp_gt_i64_e64 s[34:35], 0, v[6:7]
	v_not_b32_e32 v6, v7
	v_ashrrev_i32_e32 v6, 31, v6
	v_xor_b32_e32 v7, s35, v6
	v_xor_b32_e32 v6, s34, v6
	v_and_b32_e32 v4, v4, v7
	v_and_b32_e32 v44, v44, v6
	v_lshlrev_b32_e32 v7, 28, v43
	v_mov_b32_e32 v6, v5
	v_cmp_gt_i64_e64 s[34:35], 0, v[6:7]
	v_not_b32_e32 v6, v7
	v_ashrrev_i32_e32 v6, 31, v6
	;; [unrolled: 9-line block ×5, first 2 shown]
	v_xor_b32_e32 v7, s35, v6
	v_xor_b32_e32 v6, s34, v6
	v_and_b32_e32 v4, v4, v7
	v_lshlrev_b32_e32 v7, 24, v43
	v_and_b32_e32 v44, v44, v6
	v_mov_b32_e32 v6, v5
	v_not_b32_e32 v5, v7
	v_cmp_gt_i64_e64 s[34:35], 0, v[6:7]
	v_ashrrev_i32_e32 v5, 31, v5
	ds_read_b32 v41, v42 offset:16
	v_xor_b32_e32 v6, s35, v5
	v_xor_b32_e32 v7, s34, v5
	v_and_b32_e32 v5, v4, v6
	v_and_b32_e32 v4, v44, v7
	v_mbcnt_lo_u32_b32 v6, v4, 0
	v_mbcnt_hi_u32_b32 v43, v5, v6
	v_cmp_eq_u32_e64 s[34:35], 0, v43
	v_cmp_ne_u64_e64 s[36:37], 0, v[4:5]
	s_and_b64 s[36:37], s[36:37], s[34:35]
	; wave barrier
	s_and_saveexec_b64 s[34:35], s[36:37]
	s_cbranch_execz .LBB15_45
; %bb.44:
	v_bcnt_u32_b32 v4, v4, 0
	v_bcnt_u32_b32 v4, v5, v4
	s_waitcnt lgkmcnt(0)
	v_add_u32_e32 v4, v41, v4
	ds_write_b32 v42, v4 offset:16
.LBB15_45:
	s_or_b64 exec, exec, s[34:35]
	v_lshrrev_b32_e32 v4, s80, v16
	v_and_b32_e32 v46, s88, v4
	v_mul_lo_u32 v4, v46, 20
	v_lshl_add_u32 v45, v35, 2, v4
	v_and_b32_e32 v4, 1, v46
	v_mov_b32_e32 v5, 0
	v_lshl_add_u64 v[6:7], v[4:5], 0, -1
	v_cmp_ne_u32_e64 s[34:35], 0, v4
	; wave barrier
	s_nop 1
	v_xor_b32_e32 v6, s34, v6
	v_xor_b32_e32 v4, s35, v7
	v_and_b32_e32 v47, exec_lo, v6
	v_lshlrev_b32_e32 v7, 30, v46
	v_mov_b32_e32 v6, v5
	v_cmp_gt_i64_e64 s[34:35], 0, v[6:7]
	v_not_b32_e32 v6, v7
	v_ashrrev_i32_e32 v6, 31, v6
	v_and_b32_e32 v4, exec_hi, v4
	v_xor_b32_e32 v7, s35, v6
	v_xor_b32_e32 v6, s34, v6
	v_and_b32_e32 v4, v4, v7
	v_and_b32_e32 v47, v47, v6
	v_lshlrev_b32_e32 v7, 29, v46
	v_mov_b32_e32 v6, v5
	v_cmp_gt_i64_e64 s[34:35], 0, v[6:7]
	v_not_b32_e32 v6, v7
	v_ashrrev_i32_e32 v6, 31, v6
	v_xor_b32_e32 v7, s35, v6
	v_xor_b32_e32 v6, s34, v6
	v_and_b32_e32 v4, v4, v7
	v_and_b32_e32 v47, v47, v6
	v_lshlrev_b32_e32 v7, 28, v46
	v_mov_b32_e32 v6, v5
	v_cmp_gt_i64_e64 s[34:35], 0, v[6:7]
	v_not_b32_e32 v6, v7
	v_ashrrev_i32_e32 v6, 31, v6
	v_xor_b32_e32 v7, s35, v6
	v_xor_b32_e32 v6, s34, v6
	v_and_b32_e32 v4, v4, v7
	v_and_b32_e32 v47, v47, v6
	v_lshlrev_b32_e32 v7, 27, v46
	v_mov_b32_e32 v6, v5
	v_cmp_gt_i64_e64 s[34:35], 0, v[6:7]
	v_not_b32_e32 v6, v7
	v_ashrrev_i32_e32 v6, 31, v6
	v_xor_b32_e32 v7, s35, v6
	v_xor_b32_e32 v6, s34, v6
	v_and_b32_e32 v4, v4, v7
	v_and_b32_e32 v47, v47, v6
	v_lshlrev_b32_e32 v7, 26, v46
	v_mov_b32_e32 v6, v5
	v_cmp_gt_i64_e64 s[34:35], 0, v[6:7]
	v_not_b32_e32 v6, v7
	v_ashrrev_i32_e32 v6, 31, v6
	v_xor_b32_e32 v7, s35, v6
	v_xor_b32_e32 v6, s34, v6
	v_and_b32_e32 v4, v4, v7
	v_and_b32_e32 v47, v47, v6
	v_lshlrev_b32_e32 v7, 25, v46
	v_mov_b32_e32 v6, v5
	v_cmp_gt_i64_e64 s[34:35], 0, v[6:7]
	v_not_b32_e32 v6, v7
	v_ashrrev_i32_e32 v6, 31, v6
	v_xor_b32_e32 v7, s35, v6
	v_xor_b32_e32 v6, s34, v6
	v_and_b32_e32 v4, v4, v7
	v_and_b32_e32 v47, v47, v6
	v_lshlrev_b32_e32 v7, 24, v46
	v_mov_b32_e32 v6, v5
	v_cmp_gt_i64_e64 s[34:35], 0, v[6:7]
	v_not_b32_e32 v6, v7
	v_ashrrev_i32_e32 v6, 31, v6
	v_xor_b32_e32 v7, s35, v6
	v_xor_b32_e32 v6, s34, v6
	ds_read_b32 v44, v45 offset:16
	v_and_b32_e32 v6, v47, v6
	v_and_b32_e32 v7, v4, v7
	v_mbcnt_lo_u32_b32 v4, v6, 0
	v_mbcnt_hi_u32_b32 v46, v7, v4
	v_cmp_eq_u32_e64 s[34:35], 0, v46
	v_cmp_ne_u64_e64 s[36:37], 0, v[6:7]
	s_and_b64 s[36:37], s[36:37], s[34:35]
	; wave barrier
	s_and_saveexec_b64 s[34:35], s[36:37]
	s_cbranch_execz .LBB15_47
; %bb.46:
	v_bcnt_u32_b32 v4, v6, 0
	v_bcnt_u32_b32 v4, v7, v4
	s_waitcnt lgkmcnt(0)
	v_add_u32_e32 v4, v44, v4
	ds_write_b32 v45, v4 offset:16
.LBB15_47:
	s_or_b64 exec, exec, s[34:35]
	v_lshrrev_b32_e32 v4, s80, v15
	v_and_b32_e32 v49, s88, v4
	v_mul_lo_u32 v4, v49, 20
	v_lshl_add_u32 v48, v35, 2, v4
	v_and_b32_e32 v4, 1, v49
	v_lshl_add_u64 v[6:7], v[4:5], 0, -1
	v_cmp_ne_u32_e64 s[34:35], 0, v4
	; wave barrier
	s_nop 1
	v_xor_b32_e32 v6, s34, v6
	v_xor_b32_e32 v4, s35, v7
	v_and_b32_e32 v50, exec_lo, v6
	v_lshlrev_b32_e32 v7, 30, v49
	v_mov_b32_e32 v6, v5
	v_cmp_gt_i64_e64 s[34:35], 0, v[6:7]
	v_not_b32_e32 v6, v7
	v_ashrrev_i32_e32 v6, 31, v6
	v_and_b32_e32 v4, exec_hi, v4
	v_xor_b32_e32 v7, s35, v6
	v_xor_b32_e32 v6, s34, v6
	v_and_b32_e32 v4, v4, v7
	v_and_b32_e32 v50, v50, v6
	v_lshlrev_b32_e32 v7, 29, v49
	v_mov_b32_e32 v6, v5
	v_cmp_gt_i64_e64 s[34:35], 0, v[6:7]
	v_not_b32_e32 v6, v7
	v_ashrrev_i32_e32 v6, 31, v6
	v_xor_b32_e32 v7, s35, v6
	v_xor_b32_e32 v6, s34, v6
	v_and_b32_e32 v4, v4, v7
	v_and_b32_e32 v50, v50, v6
	v_lshlrev_b32_e32 v7, 28, v49
	v_mov_b32_e32 v6, v5
	v_cmp_gt_i64_e64 s[34:35], 0, v[6:7]
	v_not_b32_e32 v6, v7
	v_ashrrev_i32_e32 v6, 31, v6
	;; [unrolled: 9-line block ×5, first 2 shown]
	v_xor_b32_e32 v7, s35, v6
	v_xor_b32_e32 v6, s34, v6
	v_and_b32_e32 v4, v4, v7
	v_lshlrev_b32_e32 v7, 24, v49
	v_and_b32_e32 v50, v50, v6
	v_mov_b32_e32 v6, v5
	v_not_b32_e32 v5, v7
	v_cmp_gt_i64_e64 s[34:35], 0, v[6:7]
	v_ashrrev_i32_e32 v5, 31, v5
	ds_read_b32 v47, v48 offset:16
	v_xor_b32_e32 v6, s35, v5
	v_xor_b32_e32 v7, s34, v5
	v_and_b32_e32 v5, v4, v6
	v_and_b32_e32 v4, v50, v7
	v_mbcnt_lo_u32_b32 v6, v4, 0
	v_mbcnt_hi_u32_b32 v49, v5, v6
	v_cmp_eq_u32_e64 s[34:35], 0, v49
	v_cmp_ne_u64_e64 s[36:37], 0, v[4:5]
	s_and_b64 s[36:37], s[36:37], s[34:35]
	; wave barrier
	s_and_saveexec_b64 s[34:35], s[36:37]
	s_cbranch_execz .LBB15_49
; %bb.48:
	v_bcnt_u32_b32 v4, v4, 0
	v_bcnt_u32_b32 v4, v5, v4
	s_waitcnt lgkmcnt(0)
	v_add_u32_e32 v4, v47, v4
	ds_write_b32 v48, v4 offset:16
.LBB15_49:
	s_or_b64 exec, exec, s[34:35]
	v_lshrrev_b32_e32 v4, s80, v18
	v_and_b32_e32 v52, s88, v4
	v_mul_lo_u32 v4, v52, 20
	v_lshl_add_u32 v51, v35, 2, v4
	v_and_b32_e32 v4, 1, v52
	v_mov_b32_e32 v5, 0
	v_lshl_add_u64 v[6:7], v[4:5], 0, -1
	v_cmp_ne_u32_e64 s[34:35], 0, v4
	; wave barrier
	s_nop 1
	v_xor_b32_e32 v6, s34, v6
	v_xor_b32_e32 v4, s35, v7
	v_and_b32_e32 v53, exec_lo, v6
	v_lshlrev_b32_e32 v7, 30, v52
	v_mov_b32_e32 v6, v5
	v_cmp_gt_i64_e64 s[34:35], 0, v[6:7]
	v_not_b32_e32 v6, v7
	v_ashrrev_i32_e32 v6, 31, v6
	v_and_b32_e32 v4, exec_hi, v4
	v_xor_b32_e32 v7, s35, v6
	v_xor_b32_e32 v6, s34, v6
	v_and_b32_e32 v4, v4, v7
	v_and_b32_e32 v53, v53, v6
	v_lshlrev_b32_e32 v7, 29, v52
	v_mov_b32_e32 v6, v5
	v_cmp_gt_i64_e64 s[34:35], 0, v[6:7]
	v_not_b32_e32 v6, v7
	v_ashrrev_i32_e32 v6, 31, v6
	v_xor_b32_e32 v7, s35, v6
	v_xor_b32_e32 v6, s34, v6
	v_and_b32_e32 v4, v4, v7
	v_and_b32_e32 v53, v53, v6
	v_lshlrev_b32_e32 v7, 28, v52
	v_mov_b32_e32 v6, v5
	v_cmp_gt_i64_e64 s[34:35], 0, v[6:7]
	v_not_b32_e32 v6, v7
	v_ashrrev_i32_e32 v6, 31, v6
	;; [unrolled: 9-line block ×6, first 2 shown]
	v_xor_b32_e32 v7, s35, v6
	v_xor_b32_e32 v6, s34, v6
	ds_read_b32 v50, v51 offset:16
	v_and_b32_e32 v6, v53, v6
	v_and_b32_e32 v7, v4, v7
	v_mbcnt_lo_u32_b32 v4, v6, 0
	v_mbcnt_hi_u32_b32 v52, v7, v4
	v_cmp_eq_u32_e64 s[34:35], 0, v52
	v_cmp_ne_u64_e64 s[36:37], 0, v[6:7]
	s_and_b64 s[36:37], s[36:37], s[34:35]
	; wave barrier
	s_and_saveexec_b64 s[34:35], s[36:37]
	s_cbranch_execz .LBB15_51
; %bb.50:
	v_bcnt_u32_b32 v4, v6, 0
	v_bcnt_u32_b32 v4, v7, v4
	s_waitcnt lgkmcnt(0)
	v_add_u32_e32 v4, v50, v4
	ds_write_b32 v51, v4 offset:16
.LBB15_51:
	s_or_b64 exec, exec, s[34:35]
	v_lshrrev_b32_e32 v4, s80, v17
	v_and_b32_e32 v55, s88, v4
	v_mul_lo_u32 v4, v55, 20
	v_lshl_add_u32 v54, v35, 2, v4
	v_and_b32_e32 v4, 1, v55
	v_lshl_add_u64 v[6:7], v[4:5], 0, -1
	v_cmp_ne_u32_e64 s[34:35], 0, v4
	; wave barrier
	s_nop 1
	v_xor_b32_e32 v6, s34, v6
	v_xor_b32_e32 v4, s35, v7
	v_and_b32_e32 v56, exec_lo, v6
	v_lshlrev_b32_e32 v7, 30, v55
	v_mov_b32_e32 v6, v5
	v_cmp_gt_i64_e64 s[34:35], 0, v[6:7]
	v_not_b32_e32 v6, v7
	v_ashrrev_i32_e32 v6, 31, v6
	v_and_b32_e32 v4, exec_hi, v4
	v_xor_b32_e32 v7, s35, v6
	v_xor_b32_e32 v6, s34, v6
	v_and_b32_e32 v4, v4, v7
	v_and_b32_e32 v56, v56, v6
	v_lshlrev_b32_e32 v7, 29, v55
	v_mov_b32_e32 v6, v5
	v_cmp_gt_i64_e64 s[34:35], 0, v[6:7]
	v_not_b32_e32 v6, v7
	v_ashrrev_i32_e32 v6, 31, v6
	v_xor_b32_e32 v7, s35, v6
	v_xor_b32_e32 v6, s34, v6
	v_and_b32_e32 v4, v4, v7
	v_and_b32_e32 v56, v56, v6
	v_lshlrev_b32_e32 v7, 28, v55
	v_mov_b32_e32 v6, v5
	v_cmp_gt_i64_e64 s[34:35], 0, v[6:7]
	v_not_b32_e32 v6, v7
	v_ashrrev_i32_e32 v6, 31, v6
	;; [unrolled: 9-line block ×5, first 2 shown]
	v_xor_b32_e32 v7, s35, v6
	v_xor_b32_e32 v6, s34, v6
	v_and_b32_e32 v4, v4, v7
	v_lshlrev_b32_e32 v7, 24, v55
	v_and_b32_e32 v56, v56, v6
	v_mov_b32_e32 v6, v5
	v_not_b32_e32 v5, v7
	v_cmp_gt_i64_e64 s[34:35], 0, v[6:7]
	v_ashrrev_i32_e32 v5, 31, v5
	ds_read_b32 v53, v54 offset:16
	v_xor_b32_e32 v6, s35, v5
	v_xor_b32_e32 v7, s34, v5
	v_and_b32_e32 v5, v4, v6
	v_and_b32_e32 v4, v56, v7
	v_mbcnt_lo_u32_b32 v6, v4, 0
	v_mbcnt_hi_u32_b32 v55, v5, v6
	v_cmp_eq_u32_e64 s[34:35], 0, v55
	v_cmp_ne_u64_e64 s[36:37], 0, v[4:5]
	s_and_b64 s[36:37], s[36:37], s[34:35]
	; wave barrier
	s_and_saveexec_b64 s[34:35], s[36:37]
	s_cbranch_execz .LBB15_53
; %bb.52:
	v_bcnt_u32_b32 v4, v4, 0
	v_bcnt_u32_b32 v4, v5, v4
	s_waitcnt lgkmcnt(0)
	v_add_u32_e32 v4, v53, v4
	ds_write_b32 v54, v4 offset:16
.LBB15_53:
	s_or_b64 exec, exec, s[34:35]
	v_lshrrev_b32_e32 v4, s80, v20
	v_and_b32_e32 v58, s88, v4
	v_mul_lo_u32 v4, v58, 20
	v_lshl_add_u32 v57, v35, 2, v4
	v_and_b32_e32 v4, 1, v58
	v_mov_b32_e32 v5, 0
	v_lshl_add_u64 v[6:7], v[4:5], 0, -1
	v_cmp_ne_u32_e64 s[34:35], 0, v4
	; wave barrier
	s_nop 1
	v_xor_b32_e32 v6, s34, v6
	v_xor_b32_e32 v4, s35, v7
	v_and_b32_e32 v59, exec_lo, v6
	v_lshlrev_b32_e32 v7, 30, v58
	v_mov_b32_e32 v6, v5
	v_cmp_gt_i64_e64 s[34:35], 0, v[6:7]
	v_not_b32_e32 v6, v7
	v_ashrrev_i32_e32 v6, 31, v6
	v_and_b32_e32 v4, exec_hi, v4
	v_xor_b32_e32 v7, s35, v6
	v_xor_b32_e32 v6, s34, v6
	v_and_b32_e32 v4, v4, v7
	v_and_b32_e32 v59, v59, v6
	v_lshlrev_b32_e32 v7, 29, v58
	v_mov_b32_e32 v6, v5
	v_cmp_gt_i64_e64 s[34:35], 0, v[6:7]
	v_not_b32_e32 v6, v7
	v_ashrrev_i32_e32 v6, 31, v6
	v_xor_b32_e32 v7, s35, v6
	v_xor_b32_e32 v6, s34, v6
	v_and_b32_e32 v4, v4, v7
	v_and_b32_e32 v59, v59, v6
	v_lshlrev_b32_e32 v7, 28, v58
	v_mov_b32_e32 v6, v5
	v_cmp_gt_i64_e64 s[34:35], 0, v[6:7]
	v_not_b32_e32 v6, v7
	v_ashrrev_i32_e32 v6, 31, v6
	;; [unrolled: 9-line block ×6, first 2 shown]
	v_xor_b32_e32 v7, s35, v6
	v_xor_b32_e32 v6, s34, v6
	ds_read_b32 v56, v57 offset:16
	v_and_b32_e32 v6, v59, v6
	v_and_b32_e32 v7, v4, v7
	v_mbcnt_lo_u32_b32 v4, v6, 0
	v_mbcnt_hi_u32_b32 v58, v7, v4
	v_cmp_eq_u32_e64 s[34:35], 0, v58
	v_cmp_ne_u64_e64 s[36:37], 0, v[6:7]
	s_and_b64 s[36:37], s[36:37], s[34:35]
	; wave barrier
	s_and_saveexec_b64 s[34:35], s[36:37]
	s_cbranch_execz .LBB15_55
; %bb.54:
	v_bcnt_u32_b32 v4, v6, 0
	v_bcnt_u32_b32 v4, v7, v4
	s_waitcnt lgkmcnt(0)
	v_add_u32_e32 v4, v56, v4
	ds_write_b32 v57, v4 offset:16
.LBB15_55:
	s_or_b64 exec, exec, s[34:35]
	v_lshrrev_b32_e32 v4, s80, v19
	v_and_b32_e32 v61, s88, v4
	v_mul_lo_u32 v4, v61, 20
	v_lshl_add_u32 v60, v35, 2, v4
	v_and_b32_e32 v4, 1, v61
	v_lshl_add_u64 v[6:7], v[4:5], 0, -1
	v_cmp_ne_u32_e64 s[34:35], 0, v4
	; wave barrier
	s_nop 1
	v_xor_b32_e32 v6, s34, v6
	v_xor_b32_e32 v4, s35, v7
	v_and_b32_e32 v62, exec_lo, v6
	v_lshlrev_b32_e32 v7, 30, v61
	v_mov_b32_e32 v6, v5
	v_cmp_gt_i64_e64 s[34:35], 0, v[6:7]
	v_not_b32_e32 v6, v7
	v_ashrrev_i32_e32 v6, 31, v6
	v_and_b32_e32 v4, exec_hi, v4
	v_xor_b32_e32 v7, s35, v6
	v_xor_b32_e32 v6, s34, v6
	v_and_b32_e32 v4, v4, v7
	v_and_b32_e32 v62, v62, v6
	v_lshlrev_b32_e32 v7, 29, v61
	v_mov_b32_e32 v6, v5
	v_cmp_gt_i64_e64 s[34:35], 0, v[6:7]
	v_not_b32_e32 v6, v7
	v_ashrrev_i32_e32 v6, 31, v6
	v_xor_b32_e32 v7, s35, v6
	v_xor_b32_e32 v6, s34, v6
	v_and_b32_e32 v4, v4, v7
	v_and_b32_e32 v62, v62, v6
	v_lshlrev_b32_e32 v7, 28, v61
	v_mov_b32_e32 v6, v5
	v_cmp_gt_i64_e64 s[34:35], 0, v[6:7]
	v_not_b32_e32 v6, v7
	v_ashrrev_i32_e32 v6, 31, v6
	;; [unrolled: 9-line block ×5, first 2 shown]
	v_xor_b32_e32 v7, s35, v6
	v_xor_b32_e32 v6, s34, v6
	v_and_b32_e32 v4, v4, v7
	v_lshlrev_b32_e32 v7, 24, v61
	v_and_b32_e32 v62, v62, v6
	v_mov_b32_e32 v6, v5
	v_not_b32_e32 v5, v7
	v_cmp_gt_i64_e64 s[34:35], 0, v[6:7]
	v_ashrrev_i32_e32 v5, 31, v5
	ds_read_b32 v59, v60 offset:16
	v_xor_b32_e32 v6, s35, v5
	v_xor_b32_e32 v7, s34, v5
	v_and_b32_e32 v5, v4, v6
	v_and_b32_e32 v4, v62, v7
	v_mbcnt_lo_u32_b32 v6, v4, 0
	v_mbcnt_hi_u32_b32 v61, v5, v6
	v_cmp_eq_u32_e64 s[34:35], 0, v61
	v_cmp_ne_u64_e64 s[36:37], 0, v[4:5]
	s_and_b64 s[36:37], s[36:37], s[34:35]
	; wave barrier
	s_and_saveexec_b64 s[34:35], s[36:37]
	s_cbranch_execz .LBB15_57
; %bb.56:
	v_bcnt_u32_b32 v4, v4, 0
	v_bcnt_u32_b32 v4, v5, v4
	s_waitcnt lgkmcnt(0)
	v_add_u32_e32 v4, v59, v4
	ds_write_b32 v60, v4 offset:16
.LBB15_57:
	s_or_b64 exec, exec, s[34:35]
	v_lshrrev_b32_e32 v4, s80, v22
	v_and_b32_e32 v64, s88, v4
	v_mul_lo_u32 v4, v64, 20
	v_lshl_add_u32 v63, v35, 2, v4
	v_and_b32_e32 v4, 1, v64
	v_mov_b32_e32 v5, 0
	v_lshl_add_u64 v[6:7], v[4:5], 0, -1
	v_cmp_ne_u32_e64 s[34:35], 0, v4
	; wave barrier
	s_nop 1
	v_xor_b32_e32 v6, s34, v6
	v_xor_b32_e32 v4, s35, v7
	v_and_b32_e32 v65, exec_lo, v6
	v_lshlrev_b32_e32 v7, 30, v64
	v_mov_b32_e32 v6, v5
	v_cmp_gt_i64_e64 s[34:35], 0, v[6:7]
	v_not_b32_e32 v6, v7
	v_ashrrev_i32_e32 v6, 31, v6
	v_and_b32_e32 v4, exec_hi, v4
	v_xor_b32_e32 v7, s35, v6
	v_xor_b32_e32 v6, s34, v6
	v_and_b32_e32 v4, v4, v7
	v_and_b32_e32 v65, v65, v6
	v_lshlrev_b32_e32 v7, 29, v64
	v_mov_b32_e32 v6, v5
	v_cmp_gt_i64_e64 s[34:35], 0, v[6:7]
	v_not_b32_e32 v6, v7
	v_ashrrev_i32_e32 v6, 31, v6
	v_xor_b32_e32 v7, s35, v6
	v_xor_b32_e32 v6, s34, v6
	v_and_b32_e32 v4, v4, v7
	v_and_b32_e32 v65, v65, v6
	v_lshlrev_b32_e32 v7, 28, v64
	v_mov_b32_e32 v6, v5
	v_cmp_gt_i64_e64 s[34:35], 0, v[6:7]
	v_not_b32_e32 v6, v7
	v_ashrrev_i32_e32 v6, 31, v6
	;; [unrolled: 9-line block ×6, first 2 shown]
	v_xor_b32_e32 v7, s35, v6
	v_xor_b32_e32 v6, s34, v6
	ds_read_b32 v62, v63 offset:16
	v_and_b32_e32 v6, v65, v6
	v_and_b32_e32 v7, v4, v7
	v_mbcnt_lo_u32_b32 v4, v6, 0
	v_mbcnt_hi_u32_b32 v64, v7, v4
	v_cmp_eq_u32_e64 s[34:35], 0, v64
	v_cmp_ne_u64_e64 s[36:37], 0, v[6:7]
	s_and_b64 s[36:37], s[36:37], s[34:35]
	; wave barrier
	s_and_saveexec_b64 s[34:35], s[36:37]
	s_cbranch_execz .LBB15_59
; %bb.58:
	v_bcnt_u32_b32 v4, v6, 0
	v_bcnt_u32_b32 v4, v7, v4
	s_waitcnt lgkmcnt(0)
	v_add_u32_e32 v4, v62, v4
	ds_write_b32 v63, v4 offset:16
.LBB15_59:
	s_or_b64 exec, exec, s[34:35]
	v_lshrrev_b32_e32 v4, s80, v21
	v_and_b32_e32 v67, s88, v4
	v_mul_lo_u32 v4, v67, 20
	v_lshl_add_u32 v66, v35, 2, v4
	v_and_b32_e32 v4, 1, v67
	v_lshl_add_u64 v[6:7], v[4:5], 0, -1
	v_cmp_ne_u32_e64 s[34:35], 0, v4
	; wave barrier
	s_nop 1
	v_xor_b32_e32 v6, s34, v6
	v_xor_b32_e32 v4, s35, v7
	v_and_b32_e32 v68, exec_lo, v6
	v_lshlrev_b32_e32 v7, 30, v67
	v_mov_b32_e32 v6, v5
	v_cmp_gt_i64_e64 s[34:35], 0, v[6:7]
	v_not_b32_e32 v6, v7
	v_ashrrev_i32_e32 v6, 31, v6
	v_and_b32_e32 v4, exec_hi, v4
	v_xor_b32_e32 v7, s35, v6
	v_xor_b32_e32 v6, s34, v6
	v_and_b32_e32 v4, v4, v7
	v_and_b32_e32 v68, v68, v6
	v_lshlrev_b32_e32 v7, 29, v67
	v_mov_b32_e32 v6, v5
	v_cmp_gt_i64_e64 s[34:35], 0, v[6:7]
	v_not_b32_e32 v6, v7
	v_ashrrev_i32_e32 v6, 31, v6
	v_xor_b32_e32 v7, s35, v6
	v_xor_b32_e32 v6, s34, v6
	v_and_b32_e32 v4, v4, v7
	v_and_b32_e32 v68, v68, v6
	v_lshlrev_b32_e32 v7, 28, v67
	v_mov_b32_e32 v6, v5
	v_cmp_gt_i64_e64 s[34:35], 0, v[6:7]
	v_not_b32_e32 v6, v7
	v_ashrrev_i32_e32 v6, 31, v6
	;; [unrolled: 9-line block ×5, first 2 shown]
	v_xor_b32_e32 v7, s35, v6
	v_xor_b32_e32 v6, s34, v6
	v_and_b32_e32 v4, v4, v7
	v_lshlrev_b32_e32 v7, 24, v67
	v_and_b32_e32 v68, v68, v6
	v_mov_b32_e32 v6, v5
	v_not_b32_e32 v5, v7
	v_cmp_gt_i64_e64 s[34:35], 0, v[6:7]
	v_ashrrev_i32_e32 v5, 31, v5
	ds_read_b32 v65, v66 offset:16
	v_xor_b32_e32 v6, s35, v5
	v_xor_b32_e32 v7, s34, v5
	v_and_b32_e32 v5, v4, v6
	v_and_b32_e32 v4, v68, v7
	v_mbcnt_lo_u32_b32 v6, v4, 0
	v_mbcnt_hi_u32_b32 v67, v5, v6
	v_cmp_eq_u32_e64 s[34:35], 0, v67
	v_cmp_ne_u64_e64 s[36:37], 0, v[4:5]
	s_and_b64 s[36:37], s[36:37], s[34:35]
	; wave barrier
	s_and_saveexec_b64 s[34:35], s[36:37]
	s_cbranch_execz .LBB15_61
; %bb.60:
	v_bcnt_u32_b32 v4, v4, 0
	v_bcnt_u32_b32 v4, v5, v4
	s_waitcnt lgkmcnt(0)
	v_add_u32_e32 v4, v65, v4
	ds_write_b32 v66, v4 offset:16
.LBB15_61:
	s_or_b64 exec, exec, s[34:35]
	v_lshrrev_b32_e32 v4, s80, v24
	v_and_b32_e32 v70, s88, v4
	v_mul_lo_u32 v4, v70, 20
	v_lshl_add_u32 v69, v35, 2, v4
	v_and_b32_e32 v4, 1, v70
	v_mov_b32_e32 v5, 0
	v_lshl_add_u64 v[6:7], v[4:5], 0, -1
	v_cmp_ne_u32_e64 s[34:35], 0, v4
	; wave barrier
	s_nop 1
	v_xor_b32_e32 v6, s34, v6
	v_xor_b32_e32 v4, s35, v7
	v_and_b32_e32 v71, exec_lo, v6
	v_lshlrev_b32_e32 v7, 30, v70
	v_mov_b32_e32 v6, v5
	v_cmp_gt_i64_e64 s[34:35], 0, v[6:7]
	v_not_b32_e32 v6, v7
	v_ashrrev_i32_e32 v6, 31, v6
	v_and_b32_e32 v4, exec_hi, v4
	v_xor_b32_e32 v7, s35, v6
	v_xor_b32_e32 v6, s34, v6
	v_and_b32_e32 v4, v4, v7
	v_and_b32_e32 v71, v71, v6
	v_lshlrev_b32_e32 v7, 29, v70
	v_mov_b32_e32 v6, v5
	v_cmp_gt_i64_e64 s[34:35], 0, v[6:7]
	v_not_b32_e32 v6, v7
	v_ashrrev_i32_e32 v6, 31, v6
	v_xor_b32_e32 v7, s35, v6
	v_xor_b32_e32 v6, s34, v6
	v_and_b32_e32 v4, v4, v7
	v_and_b32_e32 v71, v71, v6
	v_lshlrev_b32_e32 v7, 28, v70
	v_mov_b32_e32 v6, v5
	v_cmp_gt_i64_e64 s[34:35], 0, v[6:7]
	v_not_b32_e32 v6, v7
	v_ashrrev_i32_e32 v6, 31, v6
	;; [unrolled: 9-line block ×6, first 2 shown]
	v_xor_b32_e32 v7, s35, v6
	v_xor_b32_e32 v6, s34, v6
	ds_read_b32 v68, v69 offset:16
	v_and_b32_e32 v6, v71, v6
	v_and_b32_e32 v7, v4, v7
	v_mbcnt_lo_u32_b32 v4, v6, 0
	v_mbcnt_hi_u32_b32 v70, v7, v4
	v_cmp_eq_u32_e64 s[34:35], 0, v70
	v_cmp_ne_u64_e64 s[36:37], 0, v[6:7]
	s_and_b64 s[36:37], s[36:37], s[34:35]
	; wave barrier
	s_and_saveexec_b64 s[34:35], s[36:37]
	s_cbranch_execz .LBB15_63
; %bb.62:
	v_bcnt_u32_b32 v4, v6, 0
	v_bcnt_u32_b32 v4, v7, v4
	s_waitcnt lgkmcnt(0)
	v_add_u32_e32 v4, v68, v4
	ds_write_b32 v69, v4 offset:16
.LBB15_63:
	s_or_b64 exec, exec, s[34:35]
	v_lshrrev_b32_e32 v4, s80, v23
	v_and_b32_e32 v72, s88, v4
	v_mul_lo_u32 v4, v72, 20
	v_lshl_add_u32 v35, v35, 2, v4
	v_and_b32_e32 v4, 1, v72
	v_lshl_add_u64 v[6:7], v[4:5], 0, -1
	v_cmp_ne_u32_e64 s[34:35], 0, v4
	; wave barrier
	s_nop 1
	v_xor_b32_e32 v6, s34, v6
	v_xor_b32_e32 v4, s35, v7
	v_and_b32_e32 v73, exec_lo, v6
	v_lshlrev_b32_e32 v7, 30, v72
	v_mov_b32_e32 v6, v5
	v_cmp_gt_i64_e64 s[34:35], 0, v[6:7]
	v_not_b32_e32 v6, v7
	v_ashrrev_i32_e32 v6, 31, v6
	v_and_b32_e32 v4, exec_hi, v4
	v_xor_b32_e32 v7, s35, v6
	v_xor_b32_e32 v6, s34, v6
	v_and_b32_e32 v4, v4, v7
	v_and_b32_e32 v73, v73, v6
	v_lshlrev_b32_e32 v7, 29, v72
	v_mov_b32_e32 v6, v5
	v_cmp_gt_i64_e64 s[34:35], 0, v[6:7]
	v_not_b32_e32 v6, v7
	v_ashrrev_i32_e32 v6, 31, v6
	v_xor_b32_e32 v7, s35, v6
	v_xor_b32_e32 v6, s34, v6
	v_and_b32_e32 v4, v4, v7
	v_and_b32_e32 v73, v73, v6
	v_lshlrev_b32_e32 v7, 28, v72
	v_mov_b32_e32 v6, v5
	v_cmp_gt_i64_e64 s[34:35], 0, v[6:7]
	v_not_b32_e32 v6, v7
	v_ashrrev_i32_e32 v6, 31, v6
	;; [unrolled: 9-line block ×5, first 2 shown]
	v_xor_b32_e32 v7, s35, v6
	v_xor_b32_e32 v6, s34, v6
	v_and_b32_e32 v4, v4, v7
	v_lshlrev_b32_e32 v7, 24, v72
	v_and_b32_e32 v73, v73, v6
	v_mov_b32_e32 v6, v5
	v_not_b32_e32 v5, v7
	v_cmp_gt_i64_e64 s[34:35], 0, v[6:7]
	v_ashrrev_i32_e32 v5, 31, v5
	ds_read_b32 v71, v35 offset:16
	v_xor_b32_e32 v6, s35, v5
	v_xor_b32_e32 v7, s34, v5
	v_and_b32_e32 v5, v4, v6
	v_and_b32_e32 v4, v73, v7
	v_mbcnt_lo_u32_b32 v6, v4, 0
	v_mbcnt_hi_u32_b32 v72, v5, v6
	v_cmp_eq_u32_e64 s[34:35], 0, v72
	v_cmp_ne_u64_e64 s[36:37], 0, v[4:5]
	s_and_b64 s[36:37], s[36:37], s[34:35]
	; wave barrier
	s_and_saveexec_b64 s[34:35], s[36:37]
	s_cbranch_execz .LBB15_65
; %bb.64:
	v_bcnt_u32_b32 v4, v4, 0
	v_bcnt_u32_b32 v4, v5, v4
	s_waitcnt lgkmcnt(0)
	v_add_u32_e32 v4, v71, v4
	ds_write_b32 v35, v4 offset:16
.LBB15_65:
	s_or_b64 exec, exec, s[34:35]
	; wave barrier
	s_waitcnt lgkmcnt(0)
	s_barrier
	ds_read2_b32 v[6:7], v25 offset0:4 offset1:5
	ds_read2_b32 v[4:5], v25 offset0:6 offset1:7
	ds_read_b32 v73, v25 offset:32
	s_waitcnt lgkmcnt(1)
	v_add3_u32 v74, v7, v6, v4
	s_waitcnt lgkmcnt(0)
	v_add3_u32 v73, v74, v5, v73
	v_and_b32_e32 v74, 15, v14
	v_cmp_ne_u32_e64 s[34:35], 0, v74
	v_mov_b32_dpp v75, v73 row_shr:1 row_mask:0xf bank_mask:0xf
	s_nop 0
	v_cndmask_b32_e64 v75, 0, v75, s[34:35]
	v_add_u32_e32 v73, v75, v73
	v_cmp_lt_u32_e64 s[34:35], 1, v74
	s_nop 0
	v_mov_b32_dpp v75, v73 row_shr:2 row_mask:0xf bank_mask:0xf
	v_cndmask_b32_e64 v75, 0, v75, s[34:35]
	v_add_u32_e32 v73, v73, v75
	v_cmp_lt_u32_e64 s[34:35], 3, v74
	s_nop 0
	v_mov_b32_dpp v75, v73 row_shr:4 row_mask:0xf bank_mask:0xf
	;; [unrolled: 5-line block ×3, first 2 shown]
	v_cndmask_b32_e64 v74, 0, v75, s[34:35]
	v_add_u32_e32 v73, v73, v74
	v_bfe_i32 v75, v14, 4, 1
	v_cmp_lt_u32_e64 s[34:35], 31, v14
	v_mov_b32_dpp v74, v73 row_bcast:15 row_mask:0xf bank_mask:0xf
	v_and_b32_e32 v74, v75, v74
	v_add_u32_e32 v73, v73, v74
	v_and_b32_e32 v75, 0x3c0, v2
	v_min_u32_e32 v75, 0xc0, v75
	v_mov_b32_dpp v74, v73 row_bcast:31 row_mask:0xf bank_mask:0xf
	v_cndmask_b32_e64 v74, 0, v74, s[34:35]
	v_or_b32_e32 v75, 63, v75
	v_add_u32_e32 v73, v73, v74
	v_lshrrev_b32_e32 v74, 6, v2
	v_cmp_eq_u32_e64 s[34:35], v2, v75
	s_and_saveexec_b64 s[36:37], s[34:35]
; %bb.66:
	v_lshlrev_b32_e32 v75, 2, v74
	ds_write_b32 v75, v73
; %bb.67:
	s_or_b64 exec, exec, s[36:37]
	v_cmp_gt_u32_e64 s[34:35], 4, v2
	s_waitcnt lgkmcnt(0)
	s_barrier
	s_and_saveexec_b64 s[36:37], s[34:35]
	s_cbranch_execz .LBB15_69
; %bb.68:
	v_lshlrev_b32_e32 v75, 2, v2
	ds_read_b32 v76, v75
	v_and_b32_e32 v77, 3, v14
	v_cmp_ne_u32_e64 s[34:35], 0, v77
	s_waitcnt lgkmcnt(0)
	v_mov_b32_dpp v78, v76 row_shr:1 row_mask:0xf bank_mask:0xf
	v_cndmask_b32_e64 v78, 0, v78, s[34:35]
	v_add_u32_e32 v76, v78, v76
	v_cmp_lt_u32_e64 s[34:35], 1, v77
	s_nop 0
	v_mov_b32_dpp v78, v76 row_shr:2 row_mask:0xf bank_mask:0xf
	v_cndmask_b32_e64 v77, 0, v78, s[34:35]
	v_add_u32_e32 v76, v76, v77
	ds_write_b32 v75, v76
.LBB15_69:
	s_or_b64 exec, exec, s[36:37]
	v_cmp_lt_u32_e64 s[34:35], 63, v2
	v_mov_b32_e32 v75, 0
	s_waitcnt lgkmcnt(0)
	s_barrier
	s_and_saveexec_b64 s[36:37], s[34:35]
; %bb.70:
	v_lshl_add_u32 v74, v74, 2, -4
	ds_read_b32 v75, v74
; %bb.71:
	s_or_b64 exec, exec, s[36:37]
	v_add_u32_e32 v74, -1, v14
	v_and_b32_e32 v76, 64, v14
	v_cmp_lt_i32_e64 s[34:35], v74, v76
	s_waitcnt lgkmcnt(0)
	v_add_u32_e32 v73, v75, v73
	v_cndmask_b32_e64 v74, v74, v14, s[34:35]
	v_lshlrev_b32_e32 v74, 2, v74
	ds_bpermute_b32 v73, v74, v73
	v_cmp_eq_u32_e64 s[34:35], 0, v14
	s_waitcnt lgkmcnt(0)
	s_nop 0
	v_cndmask_b32_e64 v73, v73, v75, s[34:35]
	v_cmp_ne_u32_e64 s[34:35], 0, v2
	s_nop 1
	v_cndmask_b32_e64 v73, 0, v73, s[34:35]
	v_add_u32_e32 v6, v73, v6
	v_add_u32_e32 v7, v6, v7
	;; [unrolled: 1-line block ×4, first 2 shown]
	ds_write2_b32 v25, v73, v6 offset0:4 offset1:5
	ds_write2_b32 v25, v7, v4 offset0:6 offset1:7
	ds_write_b32 v25, v5 offset:32
	s_waitcnt lgkmcnt(0)
	s_barrier
	ds_read_b32 v6, v48 offset:16
	ds_read_b32 v7, v51 offset:16
	;; [unrolled: 1-line block ×17, first 2 shown]
	v_add_u32_e32 v25, 1, v2
	s_movk_i32 s34, 0x100
	v_cmp_ne_u32_e64 s[34:35], s34, v25
	v_mov_b32_e32 v5, 0x1000
	s_and_saveexec_b64 s[36:37], s[34:35]
; %bb.72:
	v_mul_u32_u24_e32 v5, 20, v25
	ds_read_b32 v5, v5 offset:16
; %bb.73:
	s_or_b64 exec, exec, s[36:37]
	s_waitcnt lgkmcnt(7)
	v_add_u32_e32 v45, v27, v26
	s_waitcnt lgkmcnt(6)
	v_add3_u32 v42, v30, v28, v29
	s_waitcnt lgkmcnt(5)
	v_add3_u32 v39, v33, v31, v32
	v_add3_u32 v32, v49, v47, v6
	v_lshlrev_b32_e32 v6, 2, v45
	s_waitcnt lgkmcnt(0)
	s_barrier
	ds_write_b32 v6, v9 offset:2048
	v_lshlrev_b32_e32 v6, 2, v42
	v_add3_u32 v36, v37, v34, v35
	ds_write_b32 v6, v8 offset:2048
	v_lshlrev_b32_e32 v6, 2, v39
	v_add3_u32 v35, v40, v38, v69
	;; [unrolled: 3-line block ×4, first 2 shown]
	ds_write_b32 v6, v13 offset:2048
	v_lshlrev_b32_e32 v6, 2, v34
	ds_write_b32 v6, v12 offset:2048
	v_lshlrev_b32_e32 v6, 2, v33
	v_add3_u32 v31, v52, v50, v7
	ds_write_b32 v6, v16 offset:2048
	v_lshlrev_b32_e32 v6, 2, v32
	v_add3_u32 v30, v55, v53, v48
	;; [unrolled: 3-line block ×8, first 2 shown]
	ds_write_b32 v6, v21 offset:2048
	v_lshlrev_b32_e32 v6, 2, v25
	ds_write_b32 v6, v24 offset:2048
	v_lshlrev_b32_e32 v6, 2, v7
	ds_write_b32 v6, v23 offset:2048
	v_sub_u32_e32 v6, v5, v4
	v_lshl_add_u32 v10, s2, 8, v2
	v_mov_b32_e32 v11, 0
	v_lshl_add_u64 v[8:9], v[10:11], 2, s[84:85]
	v_or_b32_e32 v5, 2.0, v6
	s_mov_b64 s[36:37], 0
	s_brev_b32 s42, -4
	s_mov_b32 s43, s3
	v_mov_b32_e32 v15, 0
	s_waitcnt lgkmcnt(0)
	s_barrier
	global_store_dword v[8:9], v5, off sc1
                                        ; implicit-def: $sgpr34_sgpr35
	s_branch .LBB15_76
.LBB15_74:                              ;   in Loop: Header=BB15_76 Depth=1
	s_or_b64 exec, exec, s[40:41]
.LBB15_75:                              ;   in Loop: Header=BB15_76 Depth=1
	s_or_b64 exec, exec, s[38:39]
	v_and_b32_e32 v10, 0x3fffffff, v5
	v_add_u32_e32 v15, v10, v15
	v_cmp_gt_i32_e64 s[34:35], -2.0, v5
	s_and_b64 s[38:39], exec, s[34:35]
	s_or_b64 s[36:37], s[38:39], s[36:37]
	s_andn2_b64 exec, exec, s[36:37]
	s_cbranch_execz .LBB15_81
.LBB15_76:                              ; =>This Loop Header: Depth=1
                                        ;     Child Loop BB15_79 Depth 2
	s_or_b64 s[34:35], s[34:35], exec
	s_cmp_eq_u32 s43, 0
	s_cbranch_scc1 .LBB15_80
; %bb.77:                               ;   in Loop: Header=BB15_76 Depth=1
	s_add_i32 s43, s43, -1
	v_lshl_add_u32 v10, s43, 8, v2
	v_lshl_add_u64 v[12:13], v[10:11], 2, s[84:85]
	global_load_dword v5, v[12:13], off sc1
	s_waitcnt vmcnt(0)
	v_cmp_gt_u32_e64 s[34:35], 2.0, v5
	s_and_saveexec_b64 s[38:39], s[34:35]
	s_cbranch_execz .LBB15_75
; %bb.78:                               ;   in Loop: Header=BB15_76 Depth=1
	s_mov_b64 s[40:41], 0
.LBB15_79:                              ;   Parent Loop BB15_76 Depth=1
                                        ; =>  This Inner Loop Header: Depth=2
	global_load_dword v5, v[12:13], off sc1
	s_waitcnt vmcnt(0)
	v_cmp_lt_u32_e64 s[34:35], s42, v5
	s_or_b64 s[40:41], s[34:35], s[40:41]
	s_andn2_b64 exec, exec, s[40:41]
	s_cbranch_execnz .LBB15_79
	s_branch .LBB15_74
.LBB15_80:                              ;   in Loop: Header=BB15_76 Depth=1
                                        ; implicit-def: $sgpr43
	s_and_b64 s[38:39], exec, s[34:35]
	s_or_b64 s[36:37], s[38:39], s[36:37]
	s_andn2_b64 exec, exec, s[36:37]
	s_cbranch_execnz .LBB15_76
.LBB15_81:
	s_or_b64 exec, exec, s[36:37]
	v_add_u32_e32 v5, v15, v6
	v_or_b32_e32 v5, 0x80000000, v5
	v_lshlrev_b32_e32 v10, 3, v2
	global_store_dword v[8:9], v5, off sc1
	global_load_dwordx2 v[8:9], v10, s[76:77]
	v_sub_co_u32_e64 v12, s[34:35], v15, v4
	v_mov_b32_e32 v5, 0
	s_nop 0
	v_subb_co_u32_e64 v13, s[34:35], 0, 0, s[34:35]
	v_cmp_gt_u32_e64 s[34:35], s86, v2
	s_waitcnt vmcnt(0)
	v_lshl_add_u64 v[8:9], v[12:13], 0, v[8:9]
	ds_write_b64 v10, v[8:9]
	s_waitcnt lgkmcnt(0)
	s_barrier
	s_and_saveexec_b64 s[36:37], s[34:35]
	s_cbranch_execz .LBB15_83
; %bb.82:
	v_lshlrev_b32_e32 v8, 2, v2
	v_sub_u32_e32 v9, v10, v8
	ds_read_b32 v9, v9 offset:2048
	s_waitcnt lgkmcnt(0)
	v_lshrrev_b32_e32 v11, s80, v9
	v_and_b32_e32 v11, s88, v11
	v_lshlrev_b32_e32 v11, 3, v11
	ds_read_b64 v[12:13], v11
	v_xor_b32_e32 v11, 0x7fffffff, v9
	v_mov_b32_e32 v9, v5
	s_waitcnt lgkmcnt(0)
	v_lshl_add_u64 v[12:13], v[12:13], 2, s[70:71]
	v_lshl_add_u64 v[8:9], v[12:13], 0, v[8:9]
	global_store_dword v[8:9], v11, off
.LBB15_83:
	s_or_b64 exec, exec, s[36:37]
	v_add_u32_e32 v8, 0x100, v2
	v_cmp_gt_u32_e64 s[36:37], s86, v8
	s_and_saveexec_b64 s[38:39], s[36:37]
	s_cbranch_execz .LBB15_85
; %bb.84:
	v_lshlrev_b32_e32 v8, 2, v2
	v_sub_u32_e32 v9, v10, v8
	ds_read_b32 v9, v9 offset:3072
	s_waitcnt lgkmcnt(0)
	v_lshrrev_b32_e32 v11, s80, v9
	v_and_b32_e32 v11, s88, v11
	v_lshlrev_b32_e32 v11, 3, v11
	ds_read_b64 v[12:13], v11
	v_xor_b32_e32 v11, 0x7fffffff, v9
	v_mov_b32_e32 v9, 0
	s_waitcnt lgkmcnt(0)
	v_lshl_add_u64 v[12:13], v[12:13], 2, s[70:71]
	v_lshl_add_u64 v[8:9], v[12:13], 0, v[8:9]
	global_store_dword v[8:9], v11, off offset:1024
.LBB15_85:
	s_or_b64 exec, exec, s[38:39]
	v_add_u32_e32 v8, 0x200, v2
	v_cmp_gt_u32_e64 s[38:39], s86, v8
	s_and_saveexec_b64 s[40:41], s[38:39]
	s_cbranch_execz .LBB15_87
; %bb.86:
	v_lshlrev_b32_e32 v8, 2, v2
	v_sub_u32_e32 v9, v10, v8
	ds_read_b32 v9, v9 offset:4096
	s_waitcnt lgkmcnt(0)
	v_lshrrev_b32_e32 v11, s80, v9
	v_and_b32_e32 v11, s88, v11
	v_lshlrev_b32_e32 v11, 3, v11
	ds_read_b64 v[12:13], v11
	v_xor_b32_e32 v11, 0x7fffffff, v9
	v_mov_b32_e32 v9, 0
	s_waitcnt lgkmcnt(0)
	v_lshl_add_u64 v[12:13], v[12:13], 2, s[70:71]
	v_lshl_add_u64 v[8:9], v[12:13], 0, v[8:9]
	global_store_dword v[8:9], v11, off offset:2048
.LBB15_87:
	;; [unrolled: 21-line block ×3, first 2 shown]
	s_or_b64 exec, exec, s[42:43]
	v_or_b32_e32 v8, 0x400, v2
	v_cmp_gt_u32_e64 s[42:43], s86, v8
	s_and_saveexec_b64 s[44:45], s[42:43]
	s_cbranch_execz .LBB15_91
; %bb.90:
	v_lshlrev_b32_e32 v9, 2, v2
	v_sub_u32_e32 v9, v10, v9
	ds_read_b32 v9, v9 offset:6144
	v_lshlrev_b32_e32 v8, 2, v8
	s_waitcnt lgkmcnt(0)
	v_lshrrev_b32_e32 v11, s80, v9
	v_and_b32_e32 v11, s88, v11
	v_lshlrev_b32_e32 v11, 3, v11
	ds_read_b64 v[12:13], v11
	v_xor_b32_e32 v11, 0x7fffffff, v9
	v_mov_b32_e32 v9, 0
	s_waitcnt lgkmcnt(0)
	v_lshl_add_u64 v[12:13], v[12:13], 2, s[70:71]
	v_lshl_add_u64 v[8:9], v[12:13], 0, v[8:9]
	global_store_dword v[8:9], v11, off
.LBB15_91:
	s_or_b64 exec, exec, s[44:45]
	v_add_u32_e32 v8, 0x500, v2
	v_cmp_gt_u32_e64 s[44:45], s86, v8
	s_and_saveexec_b64 s[46:47], s[44:45]
	s_cbranch_execz .LBB15_93
; %bb.92:
	v_lshlrev_b32_e32 v9, 2, v2
	v_sub_u32_e32 v9, v10, v9
	ds_read_b32 v9, v9 offset:7168
	v_lshlrev_b32_e32 v8, 2, v8
	s_waitcnt lgkmcnt(0)
	v_lshrrev_b32_e32 v11, s80, v9
	v_and_b32_e32 v11, s88, v11
	v_lshlrev_b32_e32 v11, 3, v11
	ds_read_b64 v[12:13], v11
	v_xor_b32_e32 v11, 0x7fffffff, v9
	v_mov_b32_e32 v9, 0
	s_waitcnt lgkmcnt(0)
	v_lshl_add_u64 v[12:13], v[12:13], 2, s[70:71]
	v_lshl_add_u64 v[8:9], v[12:13], 0, v[8:9]
	global_store_dword v[8:9], v11, off
.LBB15_93:
	s_or_b64 exec, exec, s[46:47]
	v_add_u32_e32 v8, 0x600, v2
	;; [unrolled: 22-line block ×3, first 2 shown]
	v_cmp_gt_u32_e64 s[48:49], s86, v8
	s_and_saveexec_b64 s[50:51], s[48:49]
	s_cbranch_execz .LBB15_97
; %bb.96:
	v_lshlrev_b32_e32 v9, 2, v2
	ds_read_b32 v9, v9 offset:9216
	v_lshlrev_b32_e32 v8, 2, v8
	s_waitcnt lgkmcnt(0)
	v_lshrrev_b32_e32 v11, s80, v9
	v_and_b32_e32 v11, s88, v11
	v_lshlrev_b32_e32 v11, 3, v11
	ds_read_b64 v[12:13], v11
	v_xor_b32_e32 v11, 0x7fffffff, v9
	v_mov_b32_e32 v9, 0
	s_waitcnt lgkmcnt(0)
	v_lshl_add_u64 v[12:13], v[12:13], 2, s[70:71]
	v_lshl_add_u64 v[8:9], v[12:13], 0, v[8:9]
	global_store_dword v[8:9], v11, off
.LBB15_97:
	s_or_b64 exec, exec, s[50:51]
	v_or_b32_e32 v11, 0x800, v2
	v_cmp_gt_u32_e64 s[50:51], s86, v11
	s_and_saveexec_b64 s[52:53], s[50:51]
	s_cbranch_execz .LBB15_99
; %bb.98:
	v_lshlrev_b32_e32 v8, 2, v2
	ds_read_b32 v13, v8 offset:10240
	v_lshlrev_b32_e32 v12, 2, v11
	s_waitcnt lgkmcnt(0)
	v_lshrrev_b32_e32 v8, s80, v13
	v_and_b32_e32 v8, s88, v8
	v_lshlrev_b32_e32 v8, 3, v8
	ds_read_b64 v[8:9], v8
	v_xor_b32_e32 v15, 0x7fffffff, v13
	v_mov_b32_e32 v13, 0
	s_waitcnt lgkmcnt(0)
	v_lshl_add_u64 v[8:9], v[8:9], 2, s[70:71]
	v_lshl_add_u64 v[8:9], v[8:9], 0, v[12:13]
	global_store_dword v[8:9], v15, off
.LBB15_99:
	s_or_b64 exec, exec, s[52:53]
	v_add_u32_e32 v12, 0x900, v2
	v_cmp_gt_u32_e64 s[52:53], s86, v12
	s_and_saveexec_b64 s[54:55], s[52:53]
	s_cbranch_execz .LBB15_101
; %bb.100:
	v_lshlrev_b32_e32 v8, 2, v2
	ds_read_b32 v13, v8 offset:11264
	v_lshlrev_b32_e32 v16, 2, v12
	v_mov_b32_e32 v17, 0
	s_waitcnt lgkmcnt(0)
	v_lshrrev_b32_e32 v8, s80, v13
	v_and_b32_e32 v8, s88, v8
	v_lshlrev_b32_e32 v8, 3, v8
	ds_read_b64 v[8:9], v8
	v_xor_b32_e32 v13, 0x7fffffff, v13
	s_waitcnt lgkmcnt(0)
	v_lshl_add_u64 v[8:9], v[8:9], 2, s[70:71]
	v_lshl_add_u64 v[8:9], v[8:9], 0, v[16:17]
	global_store_dword v[8:9], v13, off
.LBB15_101:
	s_or_b64 exec, exec, s[54:55]
	v_add_u32_e32 v13, 0xa00, v2
	v_cmp_gt_u32_e64 s[54:55], s86, v13
	s_and_saveexec_b64 s[56:57], s[54:55]
	s_cbranch_execz .LBB15_103
; %bb.102:
	v_lshlrev_b32_e32 v8, 2, v2
	ds_read_b32 v15, v8 offset:12288
	v_lshlrev_b32_e32 v16, 2, v13
	v_mov_b32_e32 v17, 0
	s_waitcnt lgkmcnt(0)
	v_lshrrev_b32_e32 v8, s80, v15
	v_and_b32_e32 v8, s88, v8
	v_lshlrev_b32_e32 v8, 3, v8
	ds_read_b64 v[8:9], v8
	v_xor_b32_e32 v15, 0x7fffffff, v15
	s_waitcnt lgkmcnt(0)
	v_lshl_add_u64 v[8:9], v[8:9], 2, s[70:71]
	v_lshl_add_u64 v[8:9], v[8:9], 0, v[16:17]
	global_store_dword v[8:9], v15, off
.LBB15_103:
	s_or_b64 exec, exec, s[56:57]
	v_add_u32_e32 v15, 0xb00, v2
	v_cmp_gt_u32_e64 s[56:57], s86, v15
	s_and_saveexec_b64 s[58:59], s[56:57]
	s_cbranch_execz .LBB15_105
; %bb.104:
	v_lshlrev_b32_e32 v8, 2, v2
	ds_read_b32 v17, v8 offset:13312
	v_lshlrev_b32_e32 v16, 2, v15
	s_waitcnt lgkmcnt(0)
	v_lshrrev_b32_e32 v8, s80, v17
	v_and_b32_e32 v8, s88, v8
	v_lshlrev_b32_e32 v8, 3, v8
	ds_read_b64 v[8:9], v8
	v_xor_b32_e32 v18, 0x7fffffff, v17
	v_mov_b32_e32 v17, 0
	s_waitcnt lgkmcnt(0)
	v_lshl_add_u64 v[8:9], v[8:9], 2, s[70:71]
	v_lshl_add_u64 v[8:9], v[8:9], 0, v[16:17]
	global_store_dword v[8:9], v18, off
.LBB15_105:
	s_or_b64 exec, exec, s[58:59]
	v_or_b32_e32 v16, 0xc00, v2
	v_cmp_gt_u32_e64 s[58:59], s86, v16
	s_and_saveexec_b64 s[60:61], s[58:59]
	s_cbranch_execz .LBB15_107
; %bb.106:
	v_lshlrev_b32_e32 v8, 2, v2
	ds_read_b32 v17, v8 offset:14336
	v_lshlrev_b32_e32 v18, 2, v16
	v_mov_b32_e32 v19, 0
	s_waitcnt lgkmcnt(0)
	v_lshrrev_b32_e32 v8, s80, v17
	v_and_b32_e32 v8, s88, v8
	v_lshlrev_b32_e32 v8, 3, v8
	ds_read_b64 v[8:9], v8
	v_xor_b32_e32 v17, 0x7fffffff, v17
	s_waitcnt lgkmcnt(0)
	v_lshl_add_u64 v[8:9], v[8:9], 2, s[70:71]
	v_lshl_add_u64 v[8:9], v[8:9], 0, v[18:19]
	global_store_dword v[8:9], v17, off
.LBB15_107:
	s_or_b64 exec, exec, s[60:61]
	v_add_u32_e32 v17, 0xd00, v2
	v_cmp_gt_u32_e64 s[60:61], s86, v17
	s_and_saveexec_b64 s[62:63], s[60:61]
	s_cbranch_execz .LBB15_109
; %bb.108:
	v_lshlrev_b32_e32 v8, 2, v2
	ds_read_b32 v19, v8 offset:15360
	v_lshlrev_b32_e32 v18, 2, v17
	s_waitcnt lgkmcnt(0)
	v_lshrrev_b32_e32 v8, s80, v19
	v_and_b32_e32 v8, s88, v8
	v_lshlrev_b32_e32 v8, 3, v8
	ds_read_b64 v[8:9], v8
	v_xor_b32_e32 v20, 0x7fffffff, v19
	v_mov_b32_e32 v19, 0
	s_waitcnt lgkmcnt(0)
	v_lshl_add_u64 v[8:9], v[8:9], 2, s[70:71]
	v_lshl_add_u64 v[8:9], v[8:9], 0, v[18:19]
	global_store_dword v[8:9], v20, off
.LBB15_109:
	s_or_b64 exec, exec, s[62:63]
	v_add_u32_e32 v18, 0xe00, v2
	v_cmp_gt_u32_e64 s[62:63], s86, v18
	s_and_saveexec_b64 s[64:65], s[62:63]
	s_cbranch_execz .LBB15_111
; %bb.110:
	v_lshlrev_b32_e32 v8, 2, v2
	ds_read_b32 v19, v8 offset:16384
	v_lshlrev_b32_e32 v20, 2, v18
	v_mov_b32_e32 v21, 0
	s_waitcnt lgkmcnt(0)
	v_lshrrev_b32_e32 v8, s80, v19
	v_and_b32_e32 v8, s88, v8
	v_lshlrev_b32_e32 v8, 3, v8
	ds_read_b64 v[8:9], v8
	v_xor_b32_e32 v19, 0x7fffffff, v19
	s_waitcnt lgkmcnt(0)
	v_lshl_add_u64 v[8:9], v[8:9], 2, s[70:71]
	v_lshl_add_u64 v[8:9], v[8:9], 0, v[20:21]
	global_store_dword v[8:9], v19, off
.LBB15_111:
	s_or_b64 exec, exec, s[64:65]
	v_add_u32_e32 v19, 0xf00, v2
	v_cmp_gt_u32_e64 s[64:65], s86, v19
	s_and_saveexec_b64 s[86:87], s[64:65]
	s_cbranch_execz .LBB15_113
; %bb.112:
	v_lshlrev_b32_e32 v8, 2, v2
	ds_read_b32 v21, v8 offset:17408
	v_lshlrev_b32_e32 v20, 2, v19
	s_waitcnt lgkmcnt(0)
	v_lshrrev_b32_e32 v8, s80, v21
	v_and_b32_e32 v8, s88, v8
	v_lshlrev_b32_e32 v8, 3, v8
	ds_read_b64 v[8:9], v8
	v_xor_b32_e32 v22, 0x7fffffff, v21
	v_mov_b32_e32 v21, 0
	s_waitcnt lgkmcnt(0)
	v_lshl_add_u64 v[8:9], v[8:9], 2, s[70:71]
	v_lshl_add_u64 v[8:9], v[8:9], 0, v[20:21]
	global_store_dword v[8:9], v22, off
.LBB15_113:
	s_or_b64 exec, exec, s[86:87]
	s_lshl_b64 s[82:83], s[82:83], 1
	s_add_u32 s82, s72, s82
	s_addc_u32 s83, s73, s83
	v_lshlrev_b32_e32 v8, 1, v14
	v_mov_b32_e32 v9, 0
	v_lshl_add_u64 v[20:21], s[82:83], 0, v[8:9]
	v_lshlrev_b32_e32 v8, 1, v3
	v_lshl_add_u64 v[8:9], v[20:21], 0, v[8:9]
                                        ; implicit-def: $vgpr47
	s_and_saveexec_b64 s[82:83], vcc
	s_xor_b64 s[82:83], exec, s[82:83]
	s_cbranch_execz .LBB15_129
; %bb.114:
	global_load_ushort v47, v[8:9], off
	s_or_b64 exec, exec, s[82:83]
                                        ; implicit-def: $vgpr48
	s_and_saveexec_b64 s[82:83], s[66:67]
	s_cbranch_execnz .LBB15_130
.LBB15_115:
	s_or_b64 exec, exec, s[82:83]
                                        ; implicit-def: $vgpr49
	s_and_saveexec_b64 s[66:67], s[4:5]
	s_cbranch_execz .LBB15_131
.LBB15_116:
	global_load_ushort v49, v[8:9], off offset:256
	s_or_b64 exec, exec, s[66:67]
                                        ; implicit-def: $vgpr50
	s_and_saveexec_b64 s[4:5], s[6:7]
	s_cbranch_execnz .LBB15_132
.LBB15_117:
	s_or_b64 exec, exec, s[4:5]
                                        ; implicit-def: $vgpr51
	s_and_saveexec_b64 s[4:5], s[8:9]
	s_cbranch_execz .LBB15_133
.LBB15_118:
	global_load_ushort v51, v[8:9], off offset:512
	s_or_b64 exec, exec, s[4:5]
                                        ; implicit-def: $vgpr52
	s_and_saveexec_b64 s[4:5], s[10:11]
	s_cbranch_execnz .LBB15_134
.LBB15_119:
	s_or_b64 exec, exec, s[4:5]
                                        ; implicit-def: $vgpr53
	s_and_saveexec_b64 s[4:5], s[12:13]
	s_cbranch_execz .LBB15_135
.LBB15_120:
	global_load_ushort v53, v[8:9], off offset:768
	s_or_b64 exec, exec, s[4:5]
                                        ; implicit-def: $vgpr54
	s_and_saveexec_b64 s[4:5], s[14:15]
	s_cbranch_execnz .LBB15_136
.LBB15_121:
	s_or_b64 exec, exec, s[4:5]
                                        ; implicit-def: $vgpr55
	s_and_saveexec_b64 s[4:5], s[16:17]
	s_cbranch_execz .LBB15_137
.LBB15_122:
	global_load_ushort v55, v[8:9], off offset:1024
	s_or_b64 exec, exec, s[4:5]
                                        ; implicit-def: $vgpr56
	s_and_saveexec_b64 s[4:5], s[18:19]
	s_cbranch_execnz .LBB15_138
.LBB15_123:
	s_or_b64 exec, exec, s[4:5]
                                        ; implicit-def: $vgpr57
	s_and_saveexec_b64 s[4:5], s[20:21]
	s_cbranch_execz .LBB15_139
.LBB15_124:
	global_load_ushort v57, v[8:9], off offset:1280
	s_or_b64 exec, exec, s[4:5]
                                        ; implicit-def: $vgpr58
	s_and_saveexec_b64 s[4:5], s[22:23]
	s_cbranch_execnz .LBB15_140
.LBB15_125:
	s_or_b64 exec, exec, s[4:5]
                                        ; implicit-def: $vgpr59
	s_and_saveexec_b64 s[4:5], s[24:25]
	s_cbranch_execz .LBB15_141
.LBB15_126:
	global_load_ushort v59, v[8:9], off offset:1536
	s_or_b64 exec, exec, s[4:5]
                                        ; implicit-def: $vgpr60
	s_and_saveexec_b64 s[4:5], s[26:27]
	s_cbranch_execnz .LBB15_142
.LBB15_127:
	s_or_b64 exec, exec, s[4:5]
                                        ; implicit-def: $vgpr61
	s_and_saveexec_b64 s[4:5], s[28:29]
	s_cbranch_execz .LBB15_143
.LBB15_128:
	global_load_ushort v61, v[8:9], off offset:1792
	s_or_b64 exec, exec, s[4:5]
                                        ; implicit-def: $vgpr62
	s_and_saveexec_b64 s[4:5], s[30:31]
	s_cbranch_execnz .LBB15_144
	s_branch .LBB15_145
.LBB15_129:
	s_or_b64 exec, exec, s[82:83]
                                        ; implicit-def: $vgpr48
	s_and_saveexec_b64 s[82:83], s[66:67]
	s_cbranch_execz .LBB15_115
.LBB15_130:
	global_load_ushort v48, v[8:9], off offset:128
	s_or_b64 exec, exec, s[82:83]
                                        ; implicit-def: $vgpr49
	s_and_saveexec_b64 s[66:67], s[4:5]
	s_cbranch_execnz .LBB15_116
.LBB15_131:
	s_or_b64 exec, exec, s[66:67]
                                        ; implicit-def: $vgpr50
	s_and_saveexec_b64 s[4:5], s[6:7]
	s_cbranch_execz .LBB15_117
.LBB15_132:
	global_load_ushort v50, v[8:9], off offset:384
	s_or_b64 exec, exec, s[4:5]
                                        ; implicit-def: $vgpr51
	s_and_saveexec_b64 s[4:5], s[8:9]
	s_cbranch_execnz .LBB15_118
.LBB15_133:
	s_or_b64 exec, exec, s[4:5]
                                        ; implicit-def: $vgpr52
	s_and_saveexec_b64 s[4:5], s[10:11]
	s_cbranch_execz .LBB15_119
.LBB15_134:
	global_load_ushort v52, v[8:9], off offset:640
	s_or_b64 exec, exec, s[4:5]
                                        ; implicit-def: $vgpr53
	s_and_saveexec_b64 s[4:5], s[12:13]
	s_cbranch_execnz .LBB15_120
.LBB15_135:
	s_or_b64 exec, exec, s[4:5]
                                        ; implicit-def: $vgpr54
	s_and_saveexec_b64 s[4:5], s[14:15]
	s_cbranch_execz .LBB15_121
.LBB15_136:
	global_load_ushort v54, v[8:9], off offset:896
	s_or_b64 exec, exec, s[4:5]
                                        ; implicit-def: $vgpr55
	s_and_saveexec_b64 s[4:5], s[16:17]
	s_cbranch_execnz .LBB15_122
.LBB15_137:
	s_or_b64 exec, exec, s[4:5]
                                        ; implicit-def: $vgpr56
	s_and_saveexec_b64 s[4:5], s[18:19]
	s_cbranch_execz .LBB15_123
.LBB15_138:
	global_load_ushort v56, v[8:9], off offset:1152
	s_or_b64 exec, exec, s[4:5]
                                        ; implicit-def: $vgpr57
	s_and_saveexec_b64 s[4:5], s[20:21]
	s_cbranch_execnz .LBB15_124
.LBB15_139:
	s_or_b64 exec, exec, s[4:5]
                                        ; implicit-def: $vgpr58
	s_and_saveexec_b64 s[4:5], s[22:23]
	s_cbranch_execz .LBB15_125
.LBB15_140:
	global_load_ushort v58, v[8:9], off offset:1408
	s_or_b64 exec, exec, s[4:5]
                                        ; implicit-def: $vgpr59
	s_and_saveexec_b64 s[4:5], s[24:25]
	s_cbranch_execnz .LBB15_126
.LBB15_141:
	s_or_b64 exec, exec, s[4:5]
                                        ; implicit-def: $vgpr60
	s_and_saveexec_b64 s[4:5], s[26:27]
	s_cbranch_execz .LBB15_127
.LBB15_142:
	global_load_ushort v60, v[8:9], off offset:1664
	s_or_b64 exec, exec, s[4:5]
                                        ; implicit-def: $vgpr61
	s_and_saveexec_b64 s[4:5], s[28:29]
	s_cbranch_execnz .LBB15_128
.LBB15_143:
	s_or_b64 exec, exec, s[4:5]
                                        ; implicit-def: $vgpr62
	s_and_saveexec_b64 s[4:5], s[30:31]
	s_cbranch_execz .LBB15_145
.LBB15_144:
	global_load_ushort v62, v[8:9], off offset:1920
.LBB15_145:
	s_or_b64 exec, exec, s[4:5]
	v_mov_b32_e32 v41, 0
	v_mov_b32_e32 v46, 0
	s_and_saveexec_b64 s[4:5], s[34:35]
	s_cbranch_execz .LBB15_147
; %bb.146:
	v_lshlrev_b32_e32 v3, 2, v2
	ds_read_b32 v3, v3 offset:2048
	s_waitcnt lgkmcnt(0)
	v_lshrrev_b32_e32 v3, s80, v3
	v_and_b32_e32 v46, s88, v3
.LBB15_147:
	s_or_b64 exec, exec, s[4:5]
	s_and_saveexec_b64 s[4:5], s[36:37]
	s_cbranch_execz .LBB15_149
; %bb.148:
	v_lshlrev_b32_e32 v3, 2, v2
	ds_read_b32 v3, v3 offset:3072
	s_waitcnt lgkmcnt(0)
	v_lshrrev_b32_e32 v3, s80, v3
	v_and_b32_e32 v41, s88, v3
.LBB15_149:
	s_or_b64 exec, exec, s[4:5]
	v_mov_b32_e32 v38, 0
	v_mov_b32_e32 v44, 0
	s_and_saveexec_b64 s[4:5], s[38:39]
	s_cbranch_execz .LBB15_151
; %bb.150:
	v_lshlrev_b32_e32 v3, 2, v2
	ds_read_b32 v3, v3 offset:4096
	s_waitcnt lgkmcnt(0)
	v_lshrrev_b32_e32 v3, s80, v3
	v_and_b32_e32 v44, s88, v3
.LBB15_151:
	s_or_b64 exec, exec, s[4:5]
	s_and_saveexec_b64 s[4:5], s[40:41]
	s_cbranch_execz .LBB15_153
; %bb.152:
	v_lshlrev_b32_e32 v3, 2, v2
	ds_read_b32 v3, v3 offset:5120
	s_waitcnt lgkmcnt(0)
	v_lshrrev_b32_e32 v3, s80, v3
	v_and_b32_e32 v38, s88, v3
.LBB15_153:
	;; [unrolled: 22-line block ×8, first 2 shown]
	s_or_b64 exec, exec, s[4:5]
	v_lshlrev_b32_e32 v45, 1, v45
	v_lshlrev_b32_e32 v42, 1, v42
	v_lshlrev_b32_e32 v39, 1, v39
	v_lshlrev_b32_e32 v36, 1, v36
	v_lshlrev_b32_e32 v35, 1, v35
	v_lshlrev_b32_e32 v34, 1, v34
	v_lshlrev_b32_e32 v33, 1, v33
	v_lshlrev_b32_e32 v32, 1, v32
	v_lshlrev_b32_e32 v31, 1, v31
	v_lshlrev_b32_e32 v30, 1, v30
	v_lshlrev_b32_e32 v29, 1, v29
	v_lshlrev_b32_e32 v28, 1, v28
	v_lshlrev_b32_e32 v27, 1, v27
	v_lshlrev_b32_e32 v26, 1, v26
	v_lshlrev_b32_e32 v25, 1, v25
	v_lshlrev_b32_e32 v7, 1, v7
	s_barrier
	s_waitcnt vmcnt(0)
	ds_write_b16 v45, v47 offset:2048
	ds_write_b16 v42, v48 offset:2048
	;; [unrolled: 1-line block ×16, first 2 shown]
	s_waitcnt lgkmcnt(0)
	s_barrier
	s_and_saveexec_b64 s[4:5], s[34:35]
	s_cbranch_execz .LBB15_248
; %bb.178:
	v_lshlrev_b32_e32 v7, 3, v46
	ds_read_b64 v[26:27], v7
	v_lshlrev_b32_e32 v28, 1, v2
	ds_read_u16 v7, v28 offset:2048
	v_mov_b32_e32 v29, 0
	s_waitcnt lgkmcnt(1)
	v_lshl_add_u64 v[26:27], v[26:27], 1, s[74:75]
	v_lshl_add_u64 v[26:27], v[26:27], 0, v[28:29]
	s_waitcnt lgkmcnt(0)
	global_store_short v[26:27], v7, off
	s_or_b64 exec, exec, s[4:5]
	s_and_saveexec_b64 s[4:5], s[36:37]
	s_cbranch_execnz .LBB15_249
.LBB15_179:
	s_or_b64 exec, exec, s[4:5]
	s_and_saveexec_b64 s[4:5], s[38:39]
	s_cbranch_execz .LBB15_250
.LBB15_180:
	v_lshlrev_b32_e32 v7, 3, v44
	ds_read_b64 v[26:27], v7
	v_lshlrev_b32_e32 v28, 1, v2
	ds_read_u16 v7, v28 offset:3072
	v_mov_b32_e32 v29, 0
	s_waitcnt lgkmcnt(1)
	v_lshl_add_u64 v[26:27], v[26:27], 1, s[74:75]
	v_lshl_add_u64 v[26:27], v[26:27], 0, v[28:29]
	s_waitcnt lgkmcnt(0)
	global_store_short v[26:27], v7, off offset:1024
	s_or_b64 exec, exec, s[4:5]
	s_and_saveexec_b64 s[4:5], s[40:41]
	s_cbranch_execnz .LBB15_251
.LBB15_181:
	s_or_b64 exec, exec, s[4:5]
	s_and_saveexec_b64 s[4:5], s[42:43]
	s_cbranch_execz .LBB15_252
.LBB15_182:
	v_lshlrev_b32_e32 v7, 3, v43
	ds_read_b64 v[26:27], v7
	v_lshlrev_b32_e32 v28, 1, v2
	ds_read_u16 v7, v28 offset:4096
	v_mov_b32_e32 v29, 0
	s_waitcnt lgkmcnt(1)
	v_lshl_add_u64 v[26:27], v[26:27], 1, s[74:75]
	v_lshl_add_u64 v[26:27], v[26:27], 0, v[28:29]
	s_waitcnt lgkmcnt(0)
	global_store_short v[26:27], v7, off offset:2048
	s_or_b64 exec, exec, s[4:5]
	s_and_saveexec_b64 s[4:5], s[44:45]
	s_cbranch_execnz .LBB15_253
.LBB15_183:
	s_or_b64 exec, exec, s[4:5]
	s_and_saveexec_b64 s[4:5], s[46:47]
	s_cbranch_execz .LBB15_254
.LBB15_184:
	v_lshlrev_b32_e32 v7, 3, v40
	ds_read_b64 v[24:25], v7
	v_lshlrev_b32_e32 v26, 1, v2
	ds_read_u16 v7, v26 offset:5120
	v_mov_b32_e32 v27, 0
	s_waitcnt lgkmcnt(1)
	v_lshl_add_u64 v[24:25], v[24:25], 1, s[74:75]
	v_lshl_add_u64 v[24:25], v[24:25], 0, v[26:27]
	s_waitcnt lgkmcnt(0)
	global_store_short v[24:25], v7, off offset:3072
	s_or_b64 exec, exec, s[4:5]
	s_and_saveexec_b64 s[4:5], s[48:49]
	s_cbranch_execnz .LBB15_255
.LBB15_185:
	s_or_b64 exec, exec, s[4:5]
	s_and_saveexec_b64 s[4:5], s[50:51]
	s_cbranch_execz .LBB15_256
.LBB15_186:
	v_lshlrev_b32_e32 v7, 3, v37
	ds_read_b64 v[24:25], v7
	v_lshlrev_b32_e32 v7, 1, v2
	ds_read_u16 v7, v7 offset:6144
	v_lshlrev_b32_e32 v26, 1, v11
	v_mov_b32_e32 v27, 0
	s_waitcnt lgkmcnt(1)
	v_lshl_add_u64 v[24:25], v[24:25], 1, s[74:75]
	v_lshl_add_u64 v[24:25], v[24:25], 0, v[26:27]
	s_waitcnt lgkmcnt(0)
	global_store_short v[24:25], v7, off
	s_or_b64 exec, exec, s[4:5]
	s_and_saveexec_b64 s[4:5], s[52:53]
	s_cbranch_execnz .LBB15_257
.LBB15_187:
	s_or_b64 exec, exec, s[4:5]
	s_and_saveexec_b64 s[4:5], s[54:55]
	s_cbranch_execz .LBB15_258
.LBB15_188:
	v_lshlrev_b32_e32 v7, 3, v22
	ds_read_b64 v[22:23], v7
	v_lshlrev_b32_e32 v7, 1, v2
	ds_read_u16 v7, v7 offset:7168
	v_lshlrev_b32_e32 v12, 1, v13
	v_mov_b32_e32 v13, 0
	s_waitcnt lgkmcnt(1)
	v_lshl_add_u64 v[22:23], v[22:23], 1, s[74:75]
	v_lshl_add_u64 v[12:13], v[22:23], 0, v[12:13]
	s_waitcnt lgkmcnt(0)
	global_store_short v[12:13], v7, off
	s_or_b64 exec, exec, s[4:5]
	s_and_saveexec_b64 s[4:5], s[56:57]
	s_cbranch_execnz .LBB15_259
.LBB15_189:
	s_or_b64 exec, exec, s[4:5]
	s_and_saveexec_b64 s[4:5], s[58:59]
	s_cbranch_execz .LBB15_260
.LBB15_190:
	v_lshlrev_b32_e32 v7, 3, v20
	ds_read_b64 v[12:13], v7
	v_lshlrev_b32_e32 v7, 1, v2
	ds_read_u16 v7, v7 offset:8192
	v_lshlrev_b32_e32 v14, 1, v16
	v_mov_b32_e32 v15, 0
	s_waitcnt lgkmcnt(1)
	v_lshl_add_u64 v[12:13], v[12:13], 1, s[74:75]
	v_lshl_add_u64 v[12:13], v[12:13], 0, v[14:15]
	s_waitcnt lgkmcnt(0)
	global_store_short v[12:13], v7, off
	s_or_b64 exec, exec, s[4:5]
	s_and_saveexec_b64 s[4:5], s[60:61]
	s_cbranch_execnz .LBB15_261
.LBB15_191:
	s_or_b64 exec, exec, s[4:5]
	s_and_saveexec_b64 s[4:5], s[62:63]
	s_cbranch_execz .LBB15_262
.LBB15_192:
	v_lshlrev_b32_e32 v7, 3, v9
	ds_read_b64 v[8:9], v7
	v_lshlrev_b32_e32 v7, 1, v2
	ds_read_u16 v7, v7 offset:9216
	v_lshlrev_b32_e32 v12, 1, v18
	v_mov_b32_e32 v13, 0
	s_waitcnt lgkmcnt(1)
	v_lshl_add_u64 v[8:9], v[8:9], 1, s[74:75]
	v_lshl_add_u64 v[8:9], v[8:9], 0, v[12:13]
	s_waitcnt lgkmcnt(0)
	global_store_short v[8:9], v7, off
	s_or_b64 exec, exec, s[4:5]
	s_and_saveexec_b64 s[4:5], s[64:65]
	s_cbranch_execnz .LBB15_263
.LBB15_193:
	s_or_b64 exec, exec, s[4:5]
	s_add_i32 s33, s33, -1
	s_cmp_eq_u32 s2, s33
	s_cbranch_scc0 .LBB15_195
.LBB15_194:
	ds_read_b64 v[2:3], v10
	v_mov_b32_e32 v7, 0
	v_lshl_add_u64 v[4:5], v[6:7], 0, v[4:5]
	s_waitcnt lgkmcnt(0)
	v_lshl_add_u64 v[2:3], v[4:5], 0, v[2:3]
	global_store_dwordx2 v10, v[2:3], s[78:79]
.LBB15_195:
	s_mov_b64 s[4:5], 0
.LBB15_196:
	s_and_b64 vcc, exec, s[4:5]
	s_cbranch_vccz .LBB15_247
; %bb.197:
	s_lshl_b32 s8, s2, 12
	s_mov_b32 s9, 0
	v_and_b32_e32 v2, 0x3ff, v0
	s_lshl_b64 s[4:5], s[8:9], 2
	s_add_u32 s4, s68, s4
	v_mbcnt_hi_u32_b32 v14, -1, v1
	v_lshlrev_b32_e32 v1, 4, v2
	s_addc_u32 s5, s69, s5
	v_and_b32_e32 v3, 0xc00, v1
	v_mov_b32_e32 v5, 0
	v_lshlrev_b32_e32 v4, 2, v14
	v_lshl_add_u64 v[6:7], s[4:5], 0, v[4:5]
	v_lshlrev_b32_e32 v4, 2, v3
	v_lshl_add_u64 v[8:9], v[6:7], 0, v[4:5]
	global_load_dword v1, v[8:9], off
	s_load_dword s4, s[0:1], 0x5c
	s_load_dword s10, s[0:1], 0x50
	s_add_u32 s0, s0, 0x50
	s_addc_u32 s1, s1, 0
	v_mul_u32_u24_e32 v7, 20, v2
	s_waitcnt lgkmcnt(0)
	s_lshr_b32 s4, s4, 16
	s_cmp_lt_u32 s2, s10
	s_cselect_b32 s5, 12, 18
	s_add_u32 s0, s0, s5
	s_addc_u32 s1, s1, 0
	global_load_ushort v11, v5, s[0:1]
	ds_write2_b32 v7, v5, v5 offset0:4 offset1:5
	ds_write2_b32 v7, v5, v5 offset0:6 offset1:7
	ds_write_b32 v7, v5 offset:32
	global_load_dword v10, v[8:9], off offset:256
	global_load_dword v15, v[8:9], off offset:512
	;; [unrolled: 1-line block ×15, first 2 shown]
	v_bfe_u32 v4, v0, 10, 10
	v_bfe_u32 v13, v0, 20, 10
	s_lshl_b32 s0, -1, s81
	v_mad_u32_u24 v9, v13, s4, v4
	v_mov_b32_e32 v0, v5
	s_not_b32 s11, s0
	v_mov_b32_e32 v12, v5
	v_mov_b32_e32 v16, v5
	;; [unrolled: 1-line block ×3, first 2 shown]
	s_waitcnt lgkmcnt(0)
	s_barrier
	s_waitcnt vmcnt(16)
	; wave barrier
	v_xor_b32_e32 v8, 0x7fffffff, v1
	v_lshrrev_b32_e32 v1, s80, v8
	v_bitop3_b32 v21, v1, s0, v1 bitop3:0x30
	v_and_b32_e32 v4, 1, v21
	v_lshlrev_b32_e32 v1, 30, v21
	v_lshlrev_b32_e32 v13, 29, v21
	v_lshl_add_u64 v[26:27], v[4:5], 0, -1
	v_cmp_ne_u32_e32 vcc, 0, v4
	v_lshlrev_b32_e32 v17, 28, v21
	v_cmp_gt_i64_e64 s[4:5], 0, v[12:13]
	s_waitcnt vmcnt(15)
	v_mad_u64_u32 v[18:19], s[0:1], v9, v11, v[2:3]
	v_cmp_gt_i64_e64 s[0:1], 0, v[0:1]
	v_not_b32_e32 v0, v1
	v_not_b32_e32 v1, v13
	v_xor_b32_e32 v12, vcc_lo, v26
	v_ashrrev_i32_e32 v0, 31, v0
	v_not_b32_e32 v4, v17
	v_ashrrev_i32_e32 v1, 31, v1
	v_and_b32_e32 v12, exec_lo, v12
	v_xor_b32_e32 v13, s1, v0
	v_xor_b32_e32 v0, s0, v0
	v_cmp_gt_i64_e64 s[6:7], 0, v[16:17]
	v_xor_b32_e32 v11, vcc_hi, v27
	v_ashrrev_i32_e32 v4, 31, v4
	v_xor_b32_e32 v16, s5, v1
	v_xor_b32_e32 v1, s4, v1
	v_and_b32_e32 v0, v12, v0
	v_lshlrev_b32_e32 v23, 27, v21
	v_and_b32_e32 v11, exec_hi, v11
	v_xor_b32_e32 v17, s7, v4
	v_xor_b32_e32 v4, s6, v4
	v_and_b32_e32 v0, v0, v1
	v_and_b32_e32 v11, v11, v13
	;; [unrolled: 1-line block ×3, first 2 shown]
	v_not_b32_e32 v4, v23
	v_and_b32_e32 v11, v11, v16
	v_cmp_gt_i64_e32 vcc, 0, v[22:23]
	v_ashrrev_i32_e32 v4, 31, v4
	v_and_b32_e32 v1, v11, v17
	v_xor_b32_e32 v11, vcc_hi, v4
	v_xor_b32_e32 v4, vcc_lo, v4
	v_and_b32_e32 v11, v1, v11
	v_and_b32_e32 v4, v0, v4
	v_lshlrev_b32_e32 v1, 26, v21
	v_mov_b32_e32 v0, v5
	v_cmp_gt_i64_e32 vcc, 0, v[0:1]
	v_not_b32_e32 v0, v1
	v_ashrrev_i32_e32 v0, 31, v0
	v_xor_b32_e32 v1, vcc_hi, v0
	v_xor_b32_e32 v0, vcc_lo, v0
	v_and_b32_e32 v11, v11, v1
	v_and_b32_e32 v4, v4, v0
	v_lshlrev_b32_e32 v1, 25, v21
	v_mov_b32_e32 v0, v5
	v_cmp_gt_i64_e32 vcc, 0, v[0:1]
	v_not_b32_e32 v0, v1
	v_ashrrev_i32_e32 v0, 31, v0
	;; [unrolled: 9-line block ×3, first 2 shown]
	v_xor_b32_e32 v1, vcc_hi, v0
	v_xor_b32_e32 v0, vcc_lo, v0
	v_and_b32_e32 v0, v4, v0
	v_and_b32_e32 v1, v11, v1
	v_mbcnt_lo_u32_b32 v4, v0, 0
	v_mbcnt_hi_u32_b32 v11, v1, v4
	v_mul_lo_u32 v28, v21, 20
	v_lshrrev_b32_e32 v19, 6, v18
	v_cmp_eq_u32_e32 vcc, 0, v11
	v_cmp_ne_u64_e64 s[0:1], 0, v[0:1]
	v_lshl_add_u32 v9, v19, 2, v28
	s_and_b64 s[4:5], s[0:1], vcc
	s_and_saveexec_b64 s[0:1], s[4:5]
; %bb.198:
	v_bcnt_u32_b32 v0, v0, 0
	v_bcnt_u32_b32 v0, v1, v0
	ds_write_b32 v9, v0 offset:16
; %bb.199:
	s_or_b64 exec, exec, s[0:1]
	s_waitcnt vmcnt(14)
	v_xor_b32_e32 v10, 0x7fffffff, v10
	v_lshrrev_b32_e32 v0, s80, v10
	v_and_b32_e32 v16, s11, v0
	v_mul_lo_u32 v0, v16, 20
	v_and_b32_e32 v4, 1, v16
	v_lshl_add_u32 v13, v19, 2, v0
	v_lshl_add_u64 v[0:1], v[4:5], 0, -1
	v_cmp_ne_u32_e32 vcc, 0, v4
	; wave barrier
	s_nop 1
	v_xor_b32_e32 v1, vcc_hi, v1
	v_xor_b32_e32 v0, vcc_lo, v0
	v_and_b32_e32 v4, exec_hi, v1
	v_and_b32_e32 v17, exec_lo, v0
	v_lshlrev_b32_e32 v1, 30, v16
	v_mov_b32_e32 v0, v5
	v_cmp_gt_i64_e32 vcc, 0, v[0:1]
	v_not_b32_e32 v0, v1
	v_ashrrev_i32_e32 v0, 31, v0
	v_xor_b32_e32 v1, vcc_hi, v0
	v_xor_b32_e32 v0, vcc_lo, v0
	v_and_b32_e32 v4, v4, v1
	v_and_b32_e32 v17, v17, v0
	v_lshlrev_b32_e32 v1, 29, v16
	v_mov_b32_e32 v0, v5
	v_cmp_gt_i64_e32 vcc, 0, v[0:1]
	v_not_b32_e32 v0, v1
	v_ashrrev_i32_e32 v0, 31, v0
	v_xor_b32_e32 v1, vcc_hi, v0
	v_xor_b32_e32 v0, vcc_lo, v0
	v_and_b32_e32 v4, v4, v1
	v_and_b32_e32 v17, v17, v0
	;; [unrolled: 9-line block ×6, first 2 shown]
	v_lshlrev_b32_e32 v1, 24, v16
	v_mov_b32_e32 v0, v5
	v_cmp_gt_i64_e32 vcc, 0, v[0:1]
	v_not_b32_e32 v0, v1
	v_ashrrev_i32_e32 v0, 31, v0
	v_xor_b32_e32 v1, vcc_hi, v0
	v_xor_b32_e32 v0, vcc_lo, v0
	ds_read_b32 v12, v13 offset:16
	v_and_b32_e32 v0, v17, v0
	v_and_b32_e32 v1, v4, v1
	v_mbcnt_lo_u32_b32 v4, v0, 0
	v_mbcnt_hi_u32_b32 v16, v1, v4
	v_cmp_eq_u32_e32 vcc, 0, v16
	v_cmp_ne_u64_e64 s[0:1], 0, v[0:1]
	s_and_b64 s[4:5], s[0:1], vcc
	; wave barrier
	s_and_saveexec_b64 s[0:1], s[4:5]
	s_cbranch_execz .LBB15_201
; %bb.200:
	v_bcnt_u32_b32 v0, v0, 0
	v_bcnt_u32_b32 v0, v1, v0
	s_waitcnt lgkmcnt(0)
	v_add_u32_e32 v0, v12, v0
	ds_write_b32 v13, v0 offset:16
.LBB15_201:
	s_or_b64 exec, exec, s[0:1]
	s_waitcnt vmcnt(13)
	v_xor_b32_e32 v15, 0x7fffffff, v15
	v_lshrrev_b32_e32 v0, s80, v15
	v_and_b32_e32 v21, s11, v0
	v_mul_lo_u32 v0, v21, 20
	v_lshl_add_u32 v18, v19, 2, v0
	v_and_b32_e32 v0, 1, v21
	v_mov_b32_e32 v1, 0
	v_lshl_add_u64 v[4:5], v[0:1], 0, -1
	v_cmp_ne_u32_e32 vcc, 0, v0
	; wave barrier
	s_nop 1
	v_xor_b32_e32 v4, vcc_lo, v4
	v_xor_b32_e32 v0, vcc_hi, v5
	v_and_b32_e32 v22, exec_lo, v4
	v_lshlrev_b32_e32 v5, 30, v21
	v_mov_b32_e32 v4, v1
	v_cmp_gt_i64_e32 vcc, 0, v[4:5]
	v_not_b32_e32 v4, v5
	v_ashrrev_i32_e32 v4, 31, v4
	v_and_b32_e32 v0, exec_hi, v0
	v_xor_b32_e32 v5, vcc_hi, v4
	v_xor_b32_e32 v4, vcc_lo, v4
	v_and_b32_e32 v0, v0, v5
	v_and_b32_e32 v22, v22, v4
	v_lshlrev_b32_e32 v5, 29, v21
	v_mov_b32_e32 v4, v1
	v_cmp_gt_i64_e32 vcc, 0, v[4:5]
	v_not_b32_e32 v4, v5
	v_ashrrev_i32_e32 v4, 31, v4
	v_xor_b32_e32 v5, vcc_hi, v4
	v_xor_b32_e32 v4, vcc_lo, v4
	v_and_b32_e32 v0, v0, v5
	v_and_b32_e32 v22, v22, v4
	v_lshlrev_b32_e32 v5, 28, v21
	v_mov_b32_e32 v4, v1
	v_cmp_gt_i64_e32 vcc, 0, v[4:5]
	v_not_b32_e32 v4, v5
	v_ashrrev_i32_e32 v4, 31, v4
	;; [unrolled: 9-line block ×6, first 2 shown]
	v_xor_b32_e32 v5, vcc_hi, v4
	v_xor_b32_e32 v4, vcc_lo, v4
	ds_read_b32 v17, v18 offset:16
	v_and_b32_e32 v4, v22, v4
	v_and_b32_e32 v5, v0, v5
	v_mbcnt_lo_u32_b32 v0, v4, 0
	v_mbcnt_hi_u32_b32 v21, v5, v0
	v_cmp_eq_u32_e32 vcc, 0, v21
	v_cmp_ne_u64_e64 s[0:1], 0, v[4:5]
	s_and_b64 s[4:5], s[0:1], vcc
	; wave barrier
	s_and_saveexec_b64 s[0:1], s[4:5]
	s_cbranch_execz .LBB15_203
; %bb.202:
	v_bcnt_u32_b32 v0, v4, 0
	v_bcnt_u32_b32 v0, v5, v0
	s_waitcnt lgkmcnt(0)
	v_add_u32_e32 v0, v17, v0
	ds_write_b32 v18, v0 offset:16
.LBB15_203:
	s_or_b64 exec, exec, s[0:1]
	s_waitcnt vmcnt(12)
	v_xor_b32_e32 v20, 0x7fffffff, v20
	v_lshrrev_b32_e32 v0, s80, v20
	v_and_b32_e32 v26, s11, v0
	v_mul_lo_u32 v0, v26, 20
	v_lshl_add_u32 v23, v19, 2, v0
	v_and_b32_e32 v0, 1, v26
	v_lshl_add_u64 v[4:5], v[0:1], 0, -1
	v_cmp_ne_u32_e32 vcc, 0, v0
	; wave barrier
	s_nop 1
	v_xor_b32_e32 v4, vcc_lo, v4
	v_xor_b32_e32 v0, vcc_hi, v5
	v_and_b32_e32 v27, exec_lo, v4
	v_lshlrev_b32_e32 v5, 30, v26
	v_mov_b32_e32 v4, v1
	v_cmp_gt_i64_e32 vcc, 0, v[4:5]
	v_not_b32_e32 v4, v5
	v_ashrrev_i32_e32 v4, 31, v4
	v_and_b32_e32 v0, exec_hi, v0
	v_xor_b32_e32 v5, vcc_hi, v4
	v_xor_b32_e32 v4, vcc_lo, v4
	v_and_b32_e32 v0, v0, v5
	v_and_b32_e32 v27, v27, v4
	v_lshlrev_b32_e32 v5, 29, v26
	v_mov_b32_e32 v4, v1
	v_cmp_gt_i64_e32 vcc, 0, v[4:5]
	v_not_b32_e32 v4, v5
	v_ashrrev_i32_e32 v4, 31, v4
	v_xor_b32_e32 v5, vcc_hi, v4
	v_xor_b32_e32 v4, vcc_lo, v4
	v_and_b32_e32 v0, v0, v5
	v_and_b32_e32 v27, v27, v4
	v_lshlrev_b32_e32 v5, 28, v26
	v_mov_b32_e32 v4, v1
	v_cmp_gt_i64_e32 vcc, 0, v[4:5]
	v_not_b32_e32 v4, v5
	v_ashrrev_i32_e32 v4, 31, v4
	v_xor_b32_e32 v5, vcc_hi, v4
	v_xor_b32_e32 v4, vcc_lo, v4
	v_and_b32_e32 v0, v0, v5
	v_and_b32_e32 v27, v27, v4
	v_lshlrev_b32_e32 v5, 27, v26
	v_mov_b32_e32 v4, v1
	v_cmp_gt_i64_e32 vcc, 0, v[4:5]
	v_not_b32_e32 v4, v5
	v_ashrrev_i32_e32 v4, 31, v4
	v_xor_b32_e32 v5, vcc_hi, v4
	v_xor_b32_e32 v4, vcc_lo, v4
	v_and_b32_e32 v0, v0, v5
	v_and_b32_e32 v27, v27, v4
	v_lshlrev_b32_e32 v5, 26, v26
	v_mov_b32_e32 v4, v1
	v_cmp_gt_i64_e32 vcc, 0, v[4:5]
	v_not_b32_e32 v4, v5
	v_ashrrev_i32_e32 v4, 31, v4
	v_xor_b32_e32 v5, vcc_hi, v4
	v_xor_b32_e32 v4, vcc_lo, v4
	v_and_b32_e32 v0, v0, v5
	v_and_b32_e32 v27, v27, v4
	v_lshlrev_b32_e32 v5, 25, v26
	v_mov_b32_e32 v4, v1
	v_cmp_gt_i64_e32 vcc, 0, v[4:5]
	v_not_b32_e32 v4, v5
	v_ashrrev_i32_e32 v4, 31, v4
	v_xor_b32_e32 v5, vcc_hi, v4
	v_xor_b32_e32 v4, vcc_lo, v4
	v_and_b32_e32 v0, v0, v5
	v_lshlrev_b32_e32 v5, 24, v26
	v_and_b32_e32 v27, v27, v4
	v_mov_b32_e32 v4, v1
	v_not_b32_e32 v1, v5
	v_cmp_gt_i64_e32 vcc, 0, v[4:5]
	v_ashrrev_i32_e32 v1, 31, v1
	ds_read_b32 v22, v23 offset:16
	v_xor_b32_e32 v4, vcc_hi, v1
	v_xor_b32_e32 v5, vcc_lo, v1
	v_and_b32_e32 v1, v0, v4
	v_and_b32_e32 v0, v27, v5
	v_mbcnt_lo_u32_b32 v4, v0, 0
	v_mbcnt_hi_u32_b32 v26, v1, v4
	v_cmp_eq_u32_e32 vcc, 0, v26
	v_cmp_ne_u64_e64 s[0:1], 0, v[0:1]
	s_and_b64 s[4:5], s[0:1], vcc
	; wave barrier
	s_and_saveexec_b64 s[0:1], s[4:5]
	s_cbranch_execz .LBB15_205
; %bb.204:
	v_bcnt_u32_b32 v0, v0, 0
	v_bcnt_u32_b32 v0, v1, v0
	s_waitcnt lgkmcnt(0)
	v_add_u32_e32 v0, v22, v0
	ds_write_b32 v23, v0 offset:16
.LBB15_205:
	s_or_b64 exec, exec, s[0:1]
	s_waitcnt vmcnt(11)
	v_xor_b32_e32 v25, 0x7fffffff, v25
	v_lshrrev_b32_e32 v0, s80, v25
	v_and_b32_e32 v31, s11, v0
	v_mul_lo_u32 v0, v31, 20
	v_lshl_add_u32 v28, v19, 2, v0
	v_and_b32_e32 v0, 1, v31
	v_mov_b32_e32 v1, 0
	v_lshl_add_u64 v[4:5], v[0:1], 0, -1
	v_cmp_ne_u32_e32 vcc, 0, v0
	; wave barrier
	s_nop 1
	v_xor_b32_e32 v4, vcc_lo, v4
	v_xor_b32_e32 v0, vcc_hi, v5
	v_and_b32_e32 v32, exec_lo, v4
	v_lshlrev_b32_e32 v5, 30, v31
	v_mov_b32_e32 v4, v1
	v_cmp_gt_i64_e32 vcc, 0, v[4:5]
	v_not_b32_e32 v4, v5
	v_ashrrev_i32_e32 v4, 31, v4
	v_and_b32_e32 v0, exec_hi, v0
	v_xor_b32_e32 v5, vcc_hi, v4
	v_xor_b32_e32 v4, vcc_lo, v4
	v_and_b32_e32 v0, v0, v5
	v_and_b32_e32 v32, v32, v4
	v_lshlrev_b32_e32 v5, 29, v31
	v_mov_b32_e32 v4, v1
	v_cmp_gt_i64_e32 vcc, 0, v[4:5]
	v_not_b32_e32 v4, v5
	v_ashrrev_i32_e32 v4, 31, v4
	v_xor_b32_e32 v5, vcc_hi, v4
	v_xor_b32_e32 v4, vcc_lo, v4
	v_and_b32_e32 v0, v0, v5
	v_and_b32_e32 v32, v32, v4
	v_lshlrev_b32_e32 v5, 28, v31
	v_mov_b32_e32 v4, v1
	v_cmp_gt_i64_e32 vcc, 0, v[4:5]
	v_not_b32_e32 v4, v5
	v_ashrrev_i32_e32 v4, 31, v4
	;; [unrolled: 9-line block ×6, first 2 shown]
	v_xor_b32_e32 v5, vcc_hi, v4
	v_xor_b32_e32 v4, vcc_lo, v4
	ds_read_b32 v27, v28 offset:16
	v_and_b32_e32 v4, v32, v4
	v_and_b32_e32 v5, v0, v5
	v_mbcnt_lo_u32_b32 v0, v4, 0
	v_mbcnt_hi_u32_b32 v31, v5, v0
	v_cmp_eq_u32_e32 vcc, 0, v31
	v_cmp_ne_u64_e64 s[0:1], 0, v[4:5]
	s_and_b64 s[4:5], s[0:1], vcc
	; wave barrier
	s_and_saveexec_b64 s[0:1], s[4:5]
	s_cbranch_execz .LBB15_207
; %bb.206:
	v_bcnt_u32_b32 v0, v4, 0
	v_bcnt_u32_b32 v0, v5, v0
	s_waitcnt lgkmcnt(0)
	v_add_u32_e32 v0, v27, v0
	ds_write_b32 v28, v0 offset:16
.LBB15_207:
	s_or_b64 exec, exec, s[0:1]
	s_waitcnt vmcnt(10)
	v_xor_b32_e32 v30, 0x7fffffff, v30
	v_lshrrev_b32_e32 v0, s80, v30
	v_and_b32_e32 v36, s11, v0
	v_mul_lo_u32 v0, v36, 20
	v_lshl_add_u32 v33, v19, 2, v0
	v_and_b32_e32 v0, 1, v36
	v_lshl_add_u64 v[4:5], v[0:1], 0, -1
	v_cmp_ne_u32_e32 vcc, 0, v0
	; wave barrier
	s_nop 1
	v_xor_b32_e32 v4, vcc_lo, v4
	v_xor_b32_e32 v0, vcc_hi, v5
	v_and_b32_e32 v37, exec_lo, v4
	v_lshlrev_b32_e32 v5, 30, v36
	v_mov_b32_e32 v4, v1
	v_cmp_gt_i64_e32 vcc, 0, v[4:5]
	v_not_b32_e32 v4, v5
	v_ashrrev_i32_e32 v4, 31, v4
	v_and_b32_e32 v0, exec_hi, v0
	v_xor_b32_e32 v5, vcc_hi, v4
	v_xor_b32_e32 v4, vcc_lo, v4
	v_and_b32_e32 v0, v0, v5
	v_and_b32_e32 v37, v37, v4
	v_lshlrev_b32_e32 v5, 29, v36
	v_mov_b32_e32 v4, v1
	v_cmp_gt_i64_e32 vcc, 0, v[4:5]
	v_not_b32_e32 v4, v5
	v_ashrrev_i32_e32 v4, 31, v4
	v_xor_b32_e32 v5, vcc_hi, v4
	v_xor_b32_e32 v4, vcc_lo, v4
	v_and_b32_e32 v0, v0, v5
	v_and_b32_e32 v37, v37, v4
	v_lshlrev_b32_e32 v5, 28, v36
	v_mov_b32_e32 v4, v1
	v_cmp_gt_i64_e32 vcc, 0, v[4:5]
	v_not_b32_e32 v4, v5
	v_ashrrev_i32_e32 v4, 31, v4
	;; [unrolled: 9-line block ×5, first 2 shown]
	v_xor_b32_e32 v5, vcc_hi, v4
	v_xor_b32_e32 v4, vcc_lo, v4
	v_and_b32_e32 v0, v0, v5
	v_lshlrev_b32_e32 v5, 24, v36
	v_and_b32_e32 v37, v37, v4
	v_mov_b32_e32 v4, v1
	v_not_b32_e32 v1, v5
	v_cmp_gt_i64_e32 vcc, 0, v[4:5]
	v_ashrrev_i32_e32 v1, 31, v1
	ds_read_b32 v32, v33 offset:16
	v_xor_b32_e32 v4, vcc_hi, v1
	v_xor_b32_e32 v5, vcc_lo, v1
	v_and_b32_e32 v1, v0, v4
	v_and_b32_e32 v0, v37, v5
	v_mbcnt_lo_u32_b32 v4, v0, 0
	v_mbcnt_hi_u32_b32 v36, v1, v4
	v_cmp_eq_u32_e32 vcc, 0, v36
	v_cmp_ne_u64_e64 s[0:1], 0, v[0:1]
	s_and_b64 s[4:5], s[0:1], vcc
	; wave barrier
	s_and_saveexec_b64 s[0:1], s[4:5]
	s_cbranch_execz .LBB15_209
; %bb.208:
	v_bcnt_u32_b32 v0, v0, 0
	v_bcnt_u32_b32 v0, v1, v0
	s_waitcnt lgkmcnt(0)
	v_add_u32_e32 v0, v32, v0
	ds_write_b32 v33, v0 offset:16
.LBB15_209:
	s_or_b64 exec, exec, s[0:1]
	s_waitcnt vmcnt(9)
	v_xor_b32_e32 v35, 0x7fffffff, v35
	v_lshrrev_b32_e32 v0, s80, v35
	v_and_b32_e32 v41, s11, v0
	v_mul_lo_u32 v0, v41, 20
	v_lshl_add_u32 v38, v19, 2, v0
	v_and_b32_e32 v0, 1, v41
	v_mov_b32_e32 v1, 0
	v_lshl_add_u64 v[4:5], v[0:1], 0, -1
	v_cmp_ne_u32_e32 vcc, 0, v0
	; wave barrier
	s_nop 1
	v_xor_b32_e32 v4, vcc_lo, v4
	v_xor_b32_e32 v0, vcc_hi, v5
	v_and_b32_e32 v42, exec_lo, v4
	v_lshlrev_b32_e32 v5, 30, v41
	v_mov_b32_e32 v4, v1
	v_cmp_gt_i64_e32 vcc, 0, v[4:5]
	v_not_b32_e32 v4, v5
	v_ashrrev_i32_e32 v4, 31, v4
	v_and_b32_e32 v0, exec_hi, v0
	v_xor_b32_e32 v5, vcc_hi, v4
	v_xor_b32_e32 v4, vcc_lo, v4
	v_and_b32_e32 v0, v0, v5
	v_and_b32_e32 v42, v42, v4
	v_lshlrev_b32_e32 v5, 29, v41
	v_mov_b32_e32 v4, v1
	v_cmp_gt_i64_e32 vcc, 0, v[4:5]
	v_not_b32_e32 v4, v5
	v_ashrrev_i32_e32 v4, 31, v4
	v_xor_b32_e32 v5, vcc_hi, v4
	v_xor_b32_e32 v4, vcc_lo, v4
	v_and_b32_e32 v0, v0, v5
	v_and_b32_e32 v42, v42, v4
	v_lshlrev_b32_e32 v5, 28, v41
	v_mov_b32_e32 v4, v1
	v_cmp_gt_i64_e32 vcc, 0, v[4:5]
	v_not_b32_e32 v4, v5
	v_ashrrev_i32_e32 v4, 31, v4
	;; [unrolled: 9-line block ×6, first 2 shown]
	v_xor_b32_e32 v5, vcc_hi, v4
	v_xor_b32_e32 v4, vcc_lo, v4
	ds_read_b32 v37, v38 offset:16
	v_and_b32_e32 v4, v42, v4
	v_and_b32_e32 v5, v0, v5
	v_mbcnt_lo_u32_b32 v0, v4, 0
	v_mbcnt_hi_u32_b32 v41, v5, v0
	v_cmp_eq_u32_e32 vcc, 0, v41
	v_cmp_ne_u64_e64 s[0:1], 0, v[4:5]
	s_and_b64 s[4:5], s[0:1], vcc
	; wave barrier
	s_and_saveexec_b64 s[0:1], s[4:5]
	s_cbranch_execz .LBB15_211
; %bb.210:
	v_bcnt_u32_b32 v0, v4, 0
	v_bcnt_u32_b32 v0, v5, v0
	s_waitcnt lgkmcnt(0)
	v_add_u32_e32 v0, v37, v0
	ds_write_b32 v38, v0 offset:16
.LBB15_211:
	s_or_b64 exec, exec, s[0:1]
	s_waitcnt vmcnt(8)
	v_xor_b32_e32 v40, 0x7fffffff, v40
	v_lshrrev_b32_e32 v0, s80, v40
	v_and_b32_e32 v46, s11, v0
	v_mul_lo_u32 v0, v46, 20
	v_lshl_add_u32 v43, v19, 2, v0
	v_and_b32_e32 v0, 1, v46
	v_lshl_add_u64 v[4:5], v[0:1], 0, -1
	v_cmp_ne_u32_e32 vcc, 0, v0
	; wave barrier
	s_nop 1
	v_xor_b32_e32 v4, vcc_lo, v4
	v_xor_b32_e32 v0, vcc_hi, v5
	v_and_b32_e32 v47, exec_lo, v4
	v_lshlrev_b32_e32 v5, 30, v46
	v_mov_b32_e32 v4, v1
	v_cmp_gt_i64_e32 vcc, 0, v[4:5]
	v_not_b32_e32 v4, v5
	v_ashrrev_i32_e32 v4, 31, v4
	v_and_b32_e32 v0, exec_hi, v0
	v_xor_b32_e32 v5, vcc_hi, v4
	v_xor_b32_e32 v4, vcc_lo, v4
	v_and_b32_e32 v0, v0, v5
	v_and_b32_e32 v47, v47, v4
	v_lshlrev_b32_e32 v5, 29, v46
	v_mov_b32_e32 v4, v1
	v_cmp_gt_i64_e32 vcc, 0, v[4:5]
	v_not_b32_e32 v4, v5
	v_ashrrev_i32_e32 v4, 31, v4
	v_xor_b32_e32 v5, vcc_hi, v4
	v_xor_b32_e32 v4, vcc_lo, v4
	v_and_b32_e32 v0, v0, v5
	v_and_b32_e32 v47, v47, v4
	v_lshlrev_b32_e32 v5, 28, v46
	v_mov_b32_e32 v4, v1
	v_cmp_gt_i64_e32 vcc, 0, v[4:5]
	v_not_b32_e32 v4, v5
	v_ashrrev_i32_e32 v4, 31, v4
	;; [unrolled: 9-line block ×5, first 2 shown]
	v_xor_b32_e32 v5, vcc_hi, v4
	v_xor_b32_e32 v4, vcc_lo, v4
	v_and_b32_e32 v0, v0, v5
	v_lshlrev_b32_e32 v5, 24, v46
	v_and_b32_e32 v47, v47, v4
	v_mov_b32_e32 v4, v1
	v_not_b32_e32 v1, v5
	v_cmp_gt_i64_e32 vcc, 0, v[4:5]
	v_ashrrev_i32_e32 v1, 31, v1
	ds_read_b32 v42, v43 offset:16
	v_xor_b32_e32 v4, vcc_hi, v1
	v_xor_b32_e32 v5, vcc_lo, v1
	v_and_b32_e32 v1, v0, v4
	v_and_b32_e32 v0, v47, v5
	v_mbcnt_lo_u32_b32 v4, v0, 0
	v_mbcnt_hi_u32_b32 v46, v1, v4
	v_cmp_eq_u32_e32 vcc, 0, v46
	v_cmp_ne_u64_e64 s[0:1], 0, v[0:1]
	s_and_b64 s[4:5], s[0:1], vcc
	; wave barrier
	s_and_saveexec_b64 s[0:1], s[4:5]
	s_cbranch_execz .LBB15_213
; %bb.212:
	v_bcnt_u32_b32 v0, v0, 0
	v_bcnt_u32_b32 v0, v1, v0
	s_waitcnt lgkmcnt(0)
	v_add_u32_e32 v0, v42, v0
	ds_write_b32 v43, v0 offset:16
.LBB15_213:
	s_or_b64 exec, exec, s[0:1]
	s_waitcnt vmcnt(7)
	v_xor_b32_e32 v45, 0x7fffffff, v45
	v_lshrrev_b32_e32 v0, s80, v45
	v_and_b32_e32 v50, s11, v0
	v_mul_lo_u32 v0, v50, 20
	v_lshl_add_u32 v48, v19, 2, v0
	v_and_b32_e32 v0, 1, v50
	v_mov_b32_e32 v1, 0
	v_lshl_add_u64 v[4:5], v[0:1], 0, -1
	v_cmp_ne_u32_e32 vcc, 0, v0
	; wave barrier
	s_nop 1
	v_xor_b32_e32 v4, vcc_lo, v4
	v_xor_b32_e32 v0, vcc_hi, v5
	v_and_b32_e32 v51, exec_lo, v4
	v_lshlrev_b32_e32 v5, 30, v50
	v_mov_b32_e32 v4, v1
	v_cmp_gt_i64_e32 vcc, 0, v[4:5]
	v_not_b32_e32 v4, v5
	v_ashrrev_i32_e32 v4, 31, v4
	v_and_b32_e32 v0, exec_hi, v0
	v_xor_b32_e32 v5, vcc_hi, v4
	v_xor_b32_e32 v4, vcc_lo, v4
	v_and_b32_e32 v0, v0, v5
	v_and_b32_e32 v51, v51, v4
	v_lshlrev_b32_e32 v5, 29, v50
	v_mov_b32_e32 v4, v1
	v_cmp_gt_i64_e32 vcc, 0, v[4:5]
	v_not_b32_e32 v4, v5
	v_ashrrev_i32_e32 v4, 31, v4
	v_xor_b32_e32 v5, vcc_hi, v4
	v_xor_b32_e32 v4, vcc_lo, v4
	v_and_b32_e32 v0, v0, v5
	v_and_b32_e32 v51, v51, v4
	v_lshlrev_b32_e32 v5, 28, v50
	v_mov_b32_e32 v4, v1
	v_cmp_gt_i64_e32 vcc, 0, v[4:5]
	v_not_b32_e32 v4, v5
	v_ashrrev_i32_e32 v4, 31, v4
	;; [unrolled: 9-line block ×6, first 2 shown]
	v_xor_b32_e32 v5, vcc_hi, v4
	v_xor_b32_e32 v4, vcc_lo, v4
	ds_read_b32 v47, v48 offset:16
	v_and_b32_e32 v4, v51, v4
	v_and_b32_e32 v5, v0, v5
	v_mbcnt_lo_u32_b32 v0, v4, 0
	v_mbcnt_hi_u32_b32 v50, v5, v0
	v_cmp_eq_u32_e32 vcc, 0, v50
	v_cmp_ne_u64_e64 s[0:1], 0, v[4:5]
	s_and_b64 s[4:5], s[0:1], vcc
	; wave barrier
	s_and_saveexec_b64 s[0:1], s[4:5]
	s_cbranch_execz .LBB15_215
; %bb.214:
	v_bcnt_u32_b32 v0, v4, 0
	v_bcnt_u32_b32 v0, v5, v0
	s_waitcnt lgkmcnt(0)
	v_add_u32_e32 v0, v47, v0
	ds_write_b32 v48, v0 offset:16
.LBB15_215:
	s_or_b64 exec, exec, s[0:1]
	s_waitcnt vmcnt(6)
	v_xor_b32_e32 v49, 0x7fffffff, v49
	v_lshrrev_b32_e32 v0, s80, v49
	v_and_b32_e32 v53, s11, v0
	v_mul_lo_u32 v0, v53, 20
	v_lshl_add_u32 v52, v19, 2, v0
	v_and_b32_e32 v0, 1, v53
	v_lshl_add_u64 v[4:5], v[0:1], 0, -1
	v_cmp_ne_u32_e32 vcc, 0, v0
	; wave barrier
	s_nop 1
	v_xor_b32_e32 v4, vcc_lo, v4
	v_xor_b32_e32 v0, vcc_hi, v5
	v_and_b32_e32 v54, exec_lo, v4
	v_lshlrev_b32_e32 v5, 30, v53
	v_mov_b32_e32 v4, v1
	v_cmp_gt_i64_e32 vcc, 0, v[4:5]
	v_not_b32_e32 v4, v5
	v_ashrrev_i32_e32 v4, 31, v4
	v_and_b32_e32 v0, exec_hi, v0
	v_xor_b32_e32 v5, vcc_hi, v4
	v_xor_b32_e32 v4, vcc_lo, v4
	v_and_b32_e32 v0, v0, v5
	v_and_b32_e32 v54, v54, v4
	v_lshlrev_b32_e32 v5, 29, v53
	v_mov_b32_e32 v4, v1
	v_cmp_gt_i64_e32 vcc, 0, v[4:5]
	v_not_b32_e32 v4, v5
	v_ashrrev_i32_e32 v4, 31, v4
	v_xor_b32_e32 v5, vcc_hi, v4
	v_xor_b32_e32 v4, vcc_lo, v4
	v_and_b32_e32 v0, v0, v5
	v_and_b32_e32 v54, v54, v4
	v_lshlrev_b32_e32 v5, 28, v53
	v_mov_b32_e32 v4, v1
	v_cmp_gt_i64_e32 vcc, 0, v[4:5]
	v_not_b32_e32 v4, v5
	v_ashrrev_i32_e32 v4, 31, v4
	;; [unrolled: 9-line block ×5, first 2 shown]
	v_xor_b32_e32 v5, vcc_hi, v4
	v_xor_b32_e32 v4, vcc_lo, v4
	v_and_b32_e32 v0, v0, v5
	v_lshlrev_b32_e32 v5, 24, v53
	v_and_b32_e32 v54, v54, v4
	v_mov_b32_e32 v4, v1
	v_not_b32_e32 v1, v5
	v_cmp_gt_i64_e32 vcc, 0, v[4:5]
	v_ashrrev_i32_e32 v1, 31, v1
	ds_read_b32 v51, v52 offset:16
	v_xor_b32_e32 v4, vcc_hi, v1
	v_xor_b32_e32 v5, vcc_lo, v1
	v_and_b32_e32 v1, v0, v4
	v_and_b32_e32 v0, v54, v5
	v_mbcnt_lo_u32_b32 v4, v0, 0
	v_mbcnt_hi_u32_b32 v53, v1, v4
	v_cmp_eq_u32_e32 vcc, 0, v53
	v_cmp_ne_u64_e64 s[0:1], 0, v[0:1]
	s_and_b64 s[4:5], s[0:1], vcc
	; wave barrier
	s_and_saveexec_b64 s[0:1], s[4:5]
	s_cbranch_execz .LBB15_217
; %bb.216:
	v_bcnt_u32_b32 v0, v0, 0
	v_bcnt_u32_b32 v0, v1, v0
	s_waitcnt lgkmcnt(0)
	v_add_u32_e32 v0, v51, v0
	ds_write_b32 v52, v0 offset:16
.LBB15_217:
	s_or_b64 exec, exec, s[0:1]
	s_waitcnt vmcnt(5)
	v_xor_b32_e32 v44, 0x7fffffff, v44
	v_lshrrev_b32_e32 v0, s80, v44
	v_and_b32_e32 v56, s11, v0
	v_mul_lo_u32 v0, v56, 20
	v_lshl_add_u32 v55, v19, 2, v0
	v_and_b32_e32 v0, 1, v56
	v_mov_b32_e32 v1, 0
	v_lshl_add_u64 v[4:5], v[0:1], 0, -1
	v_cmp_ne_u32_e32 vcc, 0, v0
	; wave barrier
	s_nop 1
	v_xor_b32_e32 v4, vcc_lo, v4
	v_xor_b32_e32 v0, vcc_hi, v5
	v_and_b32_e32 v57, exec_lo, v4
	v_lshlrev_b32_e32 v5, 30, v56
	v_mov_b32_e32 v4, v1
	v_cmp_gt_i64_e32 vcc, 0, v[4:5]
	v_not_b32_e32 v4, v5
	v_ashrrev_i32_e32 v4, 31, v4
	v_and_b32_e32 v0, exec_hi, v0
	v_xor_b32_e32 v5, vcc_hi, v4
	v_xor_b32_e32 v4, vcc_lo, v4
	v_and_b32_e32 v0, v0, v5
	v_and_b32_e32 v57, v57, v4
	v_lshlrev_b32_e32 v5, 29, v56
	v_mov_b32_e32 v4, v1
	v_cmp_gt_i64_e32 vcc, 0, v[4:5]
	v_not_b32_e32 v4, v5
	v_ashrrev_i32_e32 v4, 31, v4
	v_xor_b32_e32 v5, vcc_hi, v4
	v_xor_b32_e32 v4, vcc_lo, v4
	v_and_b32_e32 v0, v0, v5
	v_and_b32_e32 v57, v57, v4
	v_lshlrev_b32_e32 v5, 28, v56
	v_mov_b32_e32 v4, v1
	v_cmp_gt_i64_e32 vcc, 0, v[4:5]
	v_not_b32_e32 v4, v5
	v_ashrrev_i32_e32 v4, 31, v4
	;; [unrolled: 9-line block ×6, first 2 shown]
	v_xor_b32_e32 v5, vcc_hi, v4
	v_xor_b32_e32 v4, vcc_lo, v4
	ds_read_b32 v54, v55 offset:16
	v_and_b32_e32 v4, v57, v4
	v_and_b32_e32 v5, v0, v5
	v_mbcnt_lo_u32_b32 v0, v4, 0
	v_mbcnt_hi_u32_b32 v56, v5, v0
	v_cmp_eq_u32_e32 vcc, 0, v56
	v_cmp_ne_u64_e64 s[0:1], 0, v[4:5]
	s_and_b64 s[4:5], s[0:1], vcc
	; wave barrier
	s_and_saveexec_b64 s[0:1], s[4:5]
	s_cbranch_execz .LBB15_219
; %bb.218:
	v_bcnt_u32_b32 v0, v4, 0
	v_bcnt_u32_b32 v0, v5, v0
	s_waitcnt lgkmcnt(0)
	v_add_u32_e32 v0, v54, v0
	ds_write_b32 v55, v0 offset:16
.LBB15_219:
	s_or_b64 exec, exec, s[0:1]
	s_waitcnt vmcnt(4)
	v_xor_b32_e32 v39, 0x7fffffff, v39
	v_lshrrev_b32_e32 v0, s80, v39
	v_and_b32_e32 v59, s11, v0
	v_mul_lo_u32 v0, v59, 20
	v_lshl_add_u32 v58, v19, 2, v0
	v_and_b32_e32 v0, 1, v59
	v_lshl_add_u64 v[4:5], v[0:1], 0, -1
	v_cmp_ne_u32_e32 vcc, 0, v0
	; wave barrier
	s_nop 1
	v_xor_b32_e32 v4, vcc_lo, v4
	v_xor_b32_e32 v0, vcc_hi, v5
	v_and_b32_e32 v60, exec_lo, v4
	v_lshlrev_b32_e32 v5, 30, v59
	v_mov_b32_e32 v4, v1
	v_cmp_gt_i64_e32 vcc, 0, v[4:5]
	v_not_b32_e32 v4, v5
	v_ashrrev_i32_e32 v4, 31, v4
	v_and_b32_e32 v0, exec_hi, v0
	v_xor_b32_e32 v5, vcc_hi, v4
	v_xor_b32_e32 v4, vcc_lo, v4
	v_and_b32_e32 v0, v0, v5
	v_and_b32_e32 v60, v60, v4
	v_lshlrev_b32_e32 v5, 29, v59
	v_mov_b32_e32 v4, v1
	v_cmp_gt_i64_e32 vcc, 0, v[4:5]
	v_not_b32_e32 v4, v5
	v_ashrrev_i32_e32 v4, 31, v4
	v_xor_b32_e32 v5, vcc_hi, v4
	v_xor_b32_e32 v4, vcc_lo, v4
	v_and_b32_e32 v0, v0, v5
	v_and_b32_e32 v60, v60, v4
	v_lshlrev_b32_e32 v5, 28, v59
	v_mov_b32_e32 v4, v1
	v_cmp_gt_i64_e32 vcc, 0, v[4:5]
	v_not_b32_e32 v4, v5
	v_ashrrev_i32_e32 v4, 31, v4
	;; [unrolled: 9-line block ×5, first 2 shown]
	v_xor_b32_e32 v5, vcc_hi, v4
	v_xor_b32_e32 v4, vcc_lo, v4
	v_and_b32_e32 v0, v0, v5
	v_lshlrev_b32_e32 v5, 24, v59
	v_and_b32_e32 v60, v60, v4
	v_mov_b32_e32 v4, v1
	v_not_b32_e32 v1, v5
	v_cmp_gt_i64_e32 vcc, 0, v[4:5]
	v_ashrrev_i32_e32 v1, 31, v1
	ds_read_b32 v57, v58 offset:16
	v_xor_b32_e32 v4, vcc_hi, v1
	v_xor_b32_e32 v5, vcc_lo, v1
	v_and_b32_e32 v1, v0, v4
	v_and_b32_e32 v0, v60, v5
	v_mbcnt_lo_u32_b32 v4, v0, 0
	v_mbcnt_hi_u32_b32 v59, v1, v4
	v_cmp_eq_u32_e32 vcc, 0, v59
	v_cmp_ne_u64_e64 s[0:1], 0, v[0:1]
	s_and_b64 s[4:5], s[0:1], vcc
	; wave barrier
	s_and_saveexec_b64 s[0:1], s[4:5]
	s_cbranch_execz .LBB15_221
; %bb.220:
	v_bcnt_u32_b32 v0, v0, 0
	v_bcnt_u32_b32 v0, v1, v0
	s_waitcnt lgkmcnt(0)
	v_add_u32_e32 v0, v57, v0
	ds_write_b32 v58, v0 offset:16
.LBB15_221:
	s_or_b64 exec, exec, s[0:1]
	s_waitcnt vmcnt(3)
	v_xor_b32_e32 v34, 0x7fffffff, v34
	v_lshrrev_b32_e32 v0, s80, v34
	v_and_b32_e32 v62, s11, v0
	v_mul_lo_u32 v0, v62, 20
	v_lshl_add_u32 v61, v19, 2, v0
	v_and_b32_e32 v0, 1, v62
	v_mov_b32_e32 v1, 0
	v_lshl_add_u64 v[4:5], v[0:1], 0, -1
	v_cmp_ne_u32_e32 vcc, 0, v0
	; wave barrier
	s_nop 1
	v_xor_b32_e32 v4, vcc_lo, v4
	v_xor_b32_e32 v0, vcc_hi, v5
	v_and_b32_e32 v63, exec_lo, v4
	v_lshlrev_b32_e32 v5, 30, v62
	v_mov_b32_e32 v4, v1
	v_cmp_gt_i64_e32 vcc, 0, v[4:5]
	v_not_b32_e32 v4, v5
	v_ashrrev_i32_e32 v4, 31, v4
	v_and_b32_e32 v0, exec_hi, v0
	v_xor_b32_e32 v5, vcc_hi, v4
	v_xor_b32_e32 v4, vcc_lo, v4
	v_and_b32_e32 v0, v0, v5
	v_and_b32_e32 v63, v63, v4
	v_lshlrev_b32_e32 v5, 29, v62
	v_mov_b32_e32 v4, v1
	v_cmp_gt_i64_e32 vcc, 0, v[4:5]
	v_not_b32_e32 v4, v5
	v_ashrrev_i32_e32 v4, 31, v4
	v_xor_b32_e32 v5, vcc_hi, v4
	v_xor_b32_e32 v4, vcc_lo, v4
	v_and_b32_e32 v0, v0, v5
	v_and_b32_e32 v63, v63, v4
	v_lshlrev_b32_e32 v5, 28, v62
	v_mov_b32_e32 v4, v1
	v_cmp_gt_i64_e32 vcc, 0, v[4:5]
	v_not_b32_e32 v4, v5
	v_ashrrev_i32_e32 v4, 31, v4
	;; [unrolled: 9-line block ×6, first 2 shown]
	v_xor_b32_e32 v5, vcc_hi, v4
	v_xor_b32_e32 v4, vcc_lo, v4
	ds_read_b32 v60, v61 offset:16
	v_and_b32_e32 v4, v63, v4
	v_and_b32_e32 v5, v0, v5
	v_mbcnt_lo_u32_b32 v0, v4, 0
	v_mbcnt_hi_u32_b32 v62, v5, v0
	v_cmp_eq_u32_e32 vcc, 0, v62
	v_cmp_ne_u64_e64 s[0:1], 0, v[4:5]
	s_and_b64 s[4:5], s[0:1], vcc
	; wave barrier
	s_and_saveexec_b64 s[0:1], s[4:5]
	s_cbranch_execz .LBB15_223
; %bb.222:
	v_bcnt_u32_b32 v0, v4, 0
	v_bcnt_u32_b32 v0, v5, v0
	s_waitcnt lgkmcnt(0)
	v_add_u32_e32 v0, v60, v0
	ds_write_b32 v61, v0 offset:16
.LBB15_223:
	s_or_b64 exec, exec, s[0:1]
	s_waitcnt vmcnt(2)
	v_xor_b32_e32 v29, 0x7fffffff, v29
	v_lshrrev_b32_e32 v0, s80, v29
	v_and_b32_e32 v65, s11, v0
	v_mul_lo_u32 v0, v65, 20
	v_lshl_add_u32 v64, v19, 2, v0
	v_and_b32_e32 v0, 1, v65
	v_lshl_add_u64 v[4:5], v[0:1], 0, -1
	v_cmp_ne_u32_e32 vcc, 0, v0
	; wave barrier
	s_nop 1
	v_xor_b32_e32 v4, vcc_lo, v4
	v_xor_b32_e32 v0, vcc_hi, v5
	v_and_b32_e32 v66, exec_lo, v4
	v_lshlrev_b32_e32 v5, 30, v65
	v_mov_b32_e32 v4, v1
	v_cmp_gt_i64_e32 vcc, 0, v[4:5]
	v_not_b32_e32 v4, v5
	v_ashrrev_i32_e32 v4, 31, v4
	v_and_b32_e32 v0, exec_hi, v0
	v_xor_b32_e32 v5, vcc_hi, v4
	v_xor_b32_e32 v4, vcc_lo, v4
	v_and_b32_e32 v0, v0, v5
	v_and_b32_e32 v66, v66, v4
	v_lshlrev_b32_e32 v5, 29, v65
	v_mov_b32_e32 v4, v1
	v_cmp_gt_i64_e32 vcc, 0, v[4:5]
	v_not_b32_e32 v4, v5
	v_ashrrev_i32_e32 v4, 31, v4
	v_xor_b32_e32 v5, vcc_hi, v4
	v_xor_b32_e32 v4, vcc_lo, v4
	v_and_b32_e32 v0, v0, v5
	v_and_b32_e32 v66, v66, v4
	v_lshlrev_b32_e32 v5, 28, v65
	v_mov_b32_e32 v4, v1
	v_cmp_gt_i64_e32 vcc, 0, v[4:5]
	v_not_b32_e32 v4, v5
	v_ashrrev_i32_e32 v4, 31, v4
	;; [unrolled: 9-line block ×5, first 2 shown]
	v_xor_b32_e32 v5, vcc_hi, v4
	v_xor_b32_e32 v4, vcc_lo, v4
	v_and_b32_e32 v0, v0, v5
	v_lshlrev_b32_e32 v5, 24, v65
	v_and_b32_e32 v66, v66, v4
	v_mov_b32_e32 v4, v1
	v_not_b32_e32 v1, v5
	v_cmp_gt_i64_e32 vcc, 0, v[4:5]
	v_ashrrev_i32_e32 v1, 31, v1
	ds_read_b32 v63, v64 offset:16
	v_xor_b32_e32 v4, vcc_hi, v1
	v_xor_b32_e32 v5, vcc_lo, v1
	v_and_b32_e32 v1, v0, v4
	v_and_b32_e32 v0, v66, v5
	v_mbcnt_lo_u32_b32 v4, v0, 0
	v_mbcnt_hi_u32_b32 v66, v1, v4
	v_cmp_eq_u32_e32 vcc, 0, v66
	v_cmp_ne_u64_e64 s[0:1], 0, v[0:1]
	s_and_b64 s[4:5], s[0:1], vcc
	; wave barrier
	s_and_saveexec_b64 s[0:1], s[4:5]
	s_cbranch_execz .LBB15_225
; %bb.224:
	v_bcnt_u32_b32 v0, v0, 0
	v_bcnt_u32_b32 v0, v1, v0
	s_waitcnt lgkmcnt(0)
	v_add_u32_e32 v0, v63, v0
	ds_write_b32 v64, v0 offset:16
.LBB15_225:
	s_or_b64 exec, exec, s[0:1]
	s_waitcnt vmcnt(1)
	v_xor_b32_e32 v65, 0x7fffffff, v24
	v_lshrrev_b32_e32 v0, s80, v65
	v_and_b32_e32 v68, s11, v0
	v_mul_lo_u32 v0, v68, 20
	v_lshl_add_u32 v24, v19, 2, v0
	v_and_b32_e32 v0, 1, v68
	v_mov_b32_e32 v1, 0
	v_lshl_add_u64 v[4:5], v[0:1], 0, -1
	v_cmp_ne_u32_e32 vcc, 0, v0
	; wave barrier
	s_nop 1
	v_xor_b32_e32 v4, vcc_lo, v4
	v_xor_b32_e32 v0, vcc_hi, v5
	v_and_b32_e32 v69, exec_lo, v4
	v_lshlrev_b32_e32 v5, 30, v68
	v_mov_b32_e32 v4, v1
	v_cmp_gt_i64_e32 vcc, 0, v[4:5]
	v_not_b32_e32 v4, v5
	v_ashrrev_i32_e32 v4, 31, v4
	v_and_b32_e32 v0, exec_hi, v0
	v_xor_b32_e32 v5, vcc_hi, v4
	v_xor_b32_e32 v4, vcc_lo, v4
	v_and_b32_e32 v0, v0, v5
	v_and_b32_e32 v69, v69, v4
	v_lshlrev_b32_e32 v5, 29, v68
	v_mov_b32_e32 v4, v1
	v_cmp_gt_i64_e32 vcc, 0, v[4:5]
	v_not_b32_e32 v4, v5
	v_ashrrev_i32_e32 v4, 31, v4
	v_xor_b32_e32 v5, vcc_hi, v4
	v_xor_b32_e32 v4, vcc_lo, v4
	v_and_b32_e32 v0, v0, v5
	v_and_b32_e32 v69, v69, v4
	v_lshlrev_b32_e32 v5, 28, v68
	v_mov_b32_e32 v4, v1
	v_cmp_gt_i64_e32 vcc, 0, v[4:5]
	v_not_b32_e32 v4, v5
	v_ashrrev_i32_e32 v4, 31, v4
	;; [unrolled: 9-line block ×6, first 2 shown]
	v_xor_b32_e32 v5, vcc_hi, v4
	v_xor_b32_e32 v4, vcc_lo, v4
	ds_read_b32 v67, v24 offset:16
	v_and_b32_e32 v4, v69, v4
	v_and_b32_e32 v5, v0, v5
	v_mbcnt_lo_u32_b32 v0, v4, 0
	v_mbcnt_hi_u32_b32 v69, v5, v0
	v_cmp_eq_u32_e32 vcc, 0, v69
	v_cmp_ne_u64_e64 s[0:1], 0, v[4:5]
	s_and_b64 s[4:5], s[0:1], vcc
	; wave barrier
	s_and_saveexec_b64 s[0:1], s[4:5]
	s_cbranch_execz .LBB15_227
; %bb.226:
	v_bcnt_u32_b32 v0, v4, 0
	v_bcnt_u32_b32 v0, v5, v0
	s_waitcnt lgkmcnt(0)
	v_add_u32_e32 v0, v67, v0
	ds_write_b32 v24, v0 offset:16
.LBB15_227:
	s_or_b64 exec, exec, s[0:1]
	s_waitcnt vmcnt(0)
	v_xor_b32_e32 v68, 0x7fffffff, v6
	v_lshrrev_b32_e32 v0, s80, v68
	v_and_b32_e32 v6, s11, v0
	v_mul_lo_u32 v0, v6, 20
	v_lshl_add_u32 v19, v19, 2, v0
	v_and_b32_e32 v0, 1, v6
	v_lshl_add_u64 v[4:5], v[0:1], 0, -1
	v_cmp_ne_u32_e32 vcc, 0, v0
	; wave barrier
	s_nop 1
	v_xor_b32_e32 v4, vcc_lo, v4
	v_xor_b32_e32 v0, vcc_hi, v5
	v_and_b32_e32 v71, exec_lo, v4
	v_lshlrev_b32_e32 v5, 30, v6
	v_mov_b32_e32 v4, v1
	v_cmp_gt_i64_e32 vcc, 0, v[4:5]
	v_not_b32_e32 v4, v5
	v_ashrrev_i32_e32 v4, 31, v4
	v_and_b32_e32 v0, exec_hi, v0
	v_xor_b32_e32 v5, vcc_hi, v4
	v_xor_b32_e32 v4, vcc_lo, v4
	v_and_b32_e32 v0, v0, v5
	v_and_b32_e32 v71, v71, v4
	v_lshlrev_b32_e32 v5, 29, v6
	v_mov_b32_e32 v4, v1
	v_cmp_gt_i64_e32 vcc, 0, v[4:5]
	v_not_b32_e32 v4, v5
	v_ashrrev_i32_e32 v4, 31, v4
	v_xor_b32_e32 v5, vcc_hi, v4
	v_xor_b32_e32 v4, vcc_lo, v4
	v_and_b32_e32 v0, v0, v5
	v_and_b32_e32 v71, v71, v4
	v_lshlrev_b32_e32 v5, 28, v6
	v_mov_b32_e32 v4, v1
	v_cmp_gt_i64_e32 vcc, 0, v[4:5]
	v_not_b32_e32 v4, v5
	v_ashrrev_i32_e32 v4, 31, v4
	v_xor_b32_e32 v5, vcc_hi, v4
	v_xor_b32_e32 v4, vcc_lo, v4
	v_and_b32_e32 v0, v0, v5
	v_and_b32_e32 v71, v71, v4
	v_lshlrev_b32_e32 v5, 27, v6
	v_mov_b32_e32 v4, v1
	v_cmp_gt_i64_e32 vcc, 0, v[4:5]
	v_not_b32_e32 v4, v5
	v_ashrrev_i32_e32 v4, 31, v4
	v_xor_b32_e32 v5, vcc_hi, v4
	v_xor_b32_e32 v4, vcc_lo, v4
	v_and_b32_e32 v0, v0, v5
	v_and_b32_e32 v71, v71, v4
	v_lshlrev_b32_e32 v5, 26, v6
	v_mov_b32_e32 v4, v1
	v_cmp_gt_i64_e32 vcc, 0, v[4:5]
	v_not_b32_e32 v4, v5
	v_ashrrev_i32_e32 v4, 31, v4
	v_xor_b32_e32 v5, vcc_hi, v4
	v_xor_b32_e32 v4, vcc_lo, v4
	v_and_b32_e32 v0, v0, v5
	v_and_b32_e32 v71, v71, v4
	v_lshlrev_b32_e32 v5, 25, v6
	v_mov_b32_e32 v4, v1
	v_cmp_gt_i64_e32 vcc, 0, v[4:5]
	v_not_b32_e32 v4, v5
	v_ashrrev_i32_e32 v4, 31, v4
	v_xor_b32_e32 v5, vcc_hi, v4
	v_xor_b32_e32 v4, vcc_lo, v4
	v_and_b32_e32 v0, v0, v5
	v_lshlrev_b32_e32 v5, 24, v6
	v_and_b32_e32 v71, v71, v4
	v_mov_b32_e32 v4, v1
	v_not_b32_e32 v1, v5
	v_cmp_gt_i64_e32 vcc, 0, v[4:5]
	v_ashrrev_i32_e32 v1, 31, v1
	ds_read_b32 v70, v19 offset:16
	v_xor_b32_e32 v4, vcc_hi, v1
	v_xor_b32_e32 v5, vcc_lo, v1
	v_and_b32_e32 v1, v0, v4
	v_and_b32_e32 v0, v71, v5
	v_mbcnt_lo_u32_b32 v4, v0, 0
	v_mbcnt_hi_u32_b32 v71, v1, v4
	v_cmp_eq_u32_e32 vcc, 0, v71
	v_cmp_ne_u64_e64 s[0:1], 0, v[0:1]
	s_and_b64 s[4:5], s[0:1], vcc
	; wave barrier
	s_and_saveexec_b64 s[0:1], s[4:5]
	s_cbranch_execz .LBB15_229
; %bb.228:
	v_bcnt_u32_b32 v0, v0, 0
	v_bcnt_u32_b32 v0, v1, v0
	s_waitcnt lgkmcnt(0)
	v_add_u32_e32 v0, v70, v0
	ds_write_b32 v19, v0 offset:16
.LBB15_229:
	s_or_b64 exec, exec, s[0:1]
	; wave barrier
	s_waitcnt lgkmcnt(0)
	s_barrier
	ds_read2_b32 v[4:5], v7 offset0:4 offset1:5
	ds_read2_b32 v[0:1], v7 offset0:6 offset1:7
	ds_read_b32 v6, v7 offset:32
	s_waitcnt lgkmcnt(1)
	v_add3_u32 v72, v5, v4, v0
	s_waitcnt lgkmcnt(0)
	v_add3_u32 v6, v72, v1, v6
	v_and_b32_e32 v72, 15, v14
	v_cmp_ne_u32_e32 vcc, 0, v72
	v_mov_b32_dpp v73, v6 row_shr:1 row_mask:0xf bank_mask:0xf
	s_nop 0
	v_cndmask_b32_e32 v73, 0, v73, vcc
	v_add_u32_e32 v6, v73, v6
	v_cmp_lt_u32_e32 vcc, 1, v72
	s_nop 0
	v_mov_b32_dpp v73, v6 row_shr:2 row_mask:0xf bank_mask:0xf
	v_cndmask_b32_e32 v73, 0, v73, vcc
	v_add_u32_e32 v6, v6, v73
	v_cmp_lt_u32_e32 vcc, 3, v72
	s_nop 0
	v_mov_b32_dpp v73, v6 row_shr:4 row_mask:0xf bank_mask:0xf
	;; [unrolled: 5-line block ×3, first 2 shown]
	v_cndmask_b32_e32 v72, 0, v73, vcc
	v_add_u32_e32 v6, v6, v72
	v_bfe_i32 v73, v14, 4, 1
	v_cmp_lt_u32_e32 vcc, 31, v14
	v_mov_b32_dpp v72, v6 row_bcast:15 row_mask:0xf bank_mask:0xf
	v_and_b32_e32 v72, v73, v72
	v_add_u32_e32 v6, v6, v72
	v_lshrrev_b32_e32 v73, 6, v2
	s_nop 0
	v_mov_b32_dpp v72, v6 row_bcast:31 row_mask:0xf bank_mask:0xf
	v_cndmask_b32_e32 v72, 0, v72, vcc
	v_add_u32_e32 v72, v6, v72
	v_and_b32_e32 v6, 0x3c0, v2
	v_min_u32_e32 v6, 0xc0, v6
	v_or_b32_e32 v6, 63, v6
	v_cmp_eq_u32_e32 vcc, v2, v6
	s_and_saveexec_b64 s[0:1], vcc
; %bb.230:
	v_lshlrev_b32_e32 v6, 2, v73
	ds_write_b32 v6, v72
; %bb.231:
	s_or_b64 exec, exec, s[0:1]
	v_cmp_gt_u32_e32 vcc, 4, v2
	v_lshlrev_b32_e32 v6, 2, v2
	s_waitcnt lgkmcnt(0)
	s_barrier
	s_and_saveexec_b64 s[0:1], vcc
	s_cbranch_execz .LBB15_233
; %bb.232:
	ds_read_b32 v74, v6
	v_and_b32_e32 v75, 3, v14
	v_cmp_ne_u32_e32 vcc, 0, v75
	s_waitcnt lgkmcnt(0)
	v_mov_b32_dpp v76, v74 row_shr:1 row_mask:0xf bank_mask:0xf
	v_cndmask_b32_e32 v76, 0, v76, vcc
	v_add_u32_e32 v74, v76, v74
	v_cmp_lt_u32_e32 vcc, 1, v75
	s_nop 0
	v_mov_b32_dpp v76, v74 row_shr:2 row_mask:0xf bank_mask:0xf
	v_cndmask_b32_e32 v75, 0, v76, vcc
	v_add_u32_e32 v74, v74, v75
	ds_write_b32 v6, v74
.LBB15_233:
	s_or_b64 exec, exec, s[0:1]
	v_cmp_lt_u32_e32 vcc, 63, v2
	v_mov_b32_e32 v74, 0
	s_waitcnt lgkmcnt(0)
	s_barrier
	s_and_saveexec_b64 s[0:1], vcc
; %bb.234:
	v_lshl_add_u32 v73, v73, 2, -4
	ds_read_b32 v74, v73
; %bb.235:
	s_or_b64 exec, exec, s[0:1]
	v_add_u32_e32 v73, -1, v14
	v_and_b32_e32 v75, 64, v14
	v_cmp_lt_i32_e32 vcc, v73, v75
	s_waitcnt lgkmcnt(0)
	v_add_u32_e32 v72, v74, v72
	s_movk_i32 s0, 0x100
	v_cndmask_b32_e32 v73, v73, v14, vcc
	v_lshlrev_b32_e32 v73, 2, v73
	ds_bpermute_b32 v72, v73, v72
	v_cmp_eq_u32_e32 vcc, 0, v14
	s_waitcnt lgkmcnt(0)
	s_nop 0
	v_cndmask_b32_e32 v72, v72, v74, vcc
	v_cmp_ne_u32_e32 vcc, 0, v2
	s_nop 1
	v_cndmask_b32_e32 v72, 0, v72, vcc
	v_add_u32_e32 v4, v72, v4
	v_add_u32_e32 v5, v4, v5
	;; [unrolled: 1-line block ×4, first 2 shown]
	ds_write2_b32 v7, v72, v4 offset0:4 offset1:5
	ds_write2_b32 v7, v5, v0 offset0:6 offset1:7
	ds_write_b32 v7, v1 offset:32
	s_waitcnt lgkmcnt(0)
	s_barrier
	ds_read_b32 v4, v43 offset:16
	ds_read_b32 v5, v48 offset:16
	;; [unrolled: 1-line block ×17, first 2 shown]
	v_add_u32_e32 v7, 1, v2
	v_cmp_ne_u32_e32 vcc, s0, v7
	v_mov_b32_e32 v1, 0x1000
	s_and_saveexec_b64 s[0:1], vcc
; %bb.236:
	v_mul_u32_u24_e32 v1, 20, v7
	ds_read_b32 v1, v1 offset:16
; %bb.237:
	s_or_b64 exec, exec, s[0:1]
	s_waitcnt lgkmcnt(7)
	v_add_u32_e32 v48, v9, v11
	s_waitcnt lgkmcnt(6)
	v_add3_u32 v43, v16, v12, v13
	s_waitcnt lgkmcnt(3)
	v_add3_u32 v28, v31, v27, v23
	;; [unrolled: 2-line block ×3, first 2 shown]
	v_add3_u32 v24, v46, v42, v4
	v_lshlrev_b32_e32 v4, 2, v48
	v_add3_u32 v38, v21, v17, v18
	s_waitcnt lgkmcnt(0)
	s_barrier
	ds_write_b32 v4, v8 offset:2048
	v_lshlrev_b32_e32 v4, 2, v43
	v_add3_u32 v33, v26, v22, v19
	ds_write_b32 v4, v10 offset:2048
	v_lshlrev_b32_e32 v4, 2, v38
	ds_write_b32 v4, v15 offset:2048
	v_lshlrev_b32_e32 v4, 2, v33
	;; [unrolled: 2-line block ×3, first 2 shown]
	v_add3_u32 v26, v41, v37, v74
	ds_write_b32 v4, v25 offset:2048
	v_lshlrev_b32_e32 v4, 2, v27
	ds_write_b32 v4, v30 offset:2048
	v_lshlrev_b32_e32 v4, 2, v26
	v_add3_u32 v23, v50, v47, v5
	ds_write_b32 v4, v35 offset:2048
	v_lshlrev_b32_e32 v4, 2, v24
	v_add3_u32 v22, v53, v51, v52
	;; [unrolled: 3-line block ×8, first 2 shown]
	ds_write_b32 v4, v29 offset:2048
	v_lshlrev_b32_e32 v4, 2, v16
	ds_write_b32 v4, v65 offset:2048
	v_lshlrev_b32_e32 v4, 2, v5
	ds_write_b32 v4, v68 offset:2048
	v_sub_u32_e32 v4, v1, v0
	v_lshl_add_u32 v10, s2, 8, v2
	v_mov_b32_e32 v11, 0
	v_lshl_add_u64 v[8:9], v[10:11], 2, s[84:85]
	v_or_b32_e32 v1, 2.0, v4
	s_mov_b64 s[0:1], 0
	s_brev_b32 s12, -4
	v_mov_b32_e32 v7, 0
	s_waitcnt lgkmcnt(0)
	s_barrier
	global_store_dword v[8:9], v1, off sc1
                                        ; implicit-def: $sgpr4_sgpr5
	s_branch .LBB15_240
.LBB15_238:                             ;   in Loop: Header=BB15_240 Depth=1
	s_or_b64 exec, exec, s[6:7]
.LBB15_239:                             ;   in Loop: Header=BB15_240 Depth=1
	s_or_b64 exec, exec, s[4:5]
	v_and_b32_e32 v10, 0x3fffffff, v1
	v_add_u32_e32 v7, v10, v7
	v_cmp_gt_i32_e64 s[4:5], -2.0, v1
	s_and_b64 s[6:7], exec, s[4:5]
	s_or_b64 s[0:1], s[6:7], s[0:1]
	s_andn2_b64 exec, exec, s[0:1]
	s_cbranch_execz .LBB15_245
.LBB15_240:                             ; =>This Loop Header: Depth=1
                                        ;     Child Loop BB15_243 Depth 2
	s_or_b64 s[4:5], s[4:5], exec
	s_cmp_eq_u32 s3, 0
	s_cbranch_scc1 .LBB15_244
; %bb.241:                              ;   in Loop: Header=BB15_240 Depth=1
	s_add_i32 s3, s3, -1
	v_lshl_add_u32 v10, s3, 8, v2
	v_lshl_add_u64 v[12:13], v[10:11], 2, s[84:85]
	global_load_dword v1, v[12:13], off sc1
	s_waitcnt vmcnt(0)
	v_cmp_gt_u32_e32 vcc, 2.0, v1
	s_and_saveexec_b64 s[4:5], vcc
	s_cbranch_execz .LBB15_239
; %bb.242:                              ;   in Loop: Header=BB15_240 Depth=1
	s_mov_b64 s[6:7], 0
.LBB15_243:                             ;   Parent Loop BB15_240 Depth=1
                                        ; =>  This Inner Loop Header: Depth=2
	global_load_dword v1, v[12:13], off sc1
	s_waitcnt vmcnt(0)
	v_cmp_lt_u32_e32 vcc, s12, v1
	s_or_b64 s[6:7], vcc, s[6:7]
	s_andn2_b64 exec, exec, s[6:7]
	s_cbranch_execnz .LBB15_243
	s_branch .LBB15_238
.LBB15_244:                             ;   in Loop: Header=BB15_240 Depth=1
                                        ; implicit-def: $sgpr3
	s_and_b64 s[6:7], exec, s[4:5]
	s_or_b64 s[0:1], s[6:7], s[0:1]
	s_andn2_b64 exec, exec, s[0:1]
	s_cbranch_execnz .LBB15_240
.LBB15_245:
	s_or_b64 exec, exec, s[0:1]
	v_add_u32_e32 v1, v7, v4
	v_or_b32_e32 v1, 0x80000000, v1
	v_lshlrev_b32_e32 v10, 3, v2
	global_store_dword v[8:9], v1, off sc1
	global_load_dwordx2 v[8:9], v10, s[76:77]
	v_sub_co_u32_e32 v12, vcc, v7, v0
	v_sub_u32_e32 v15, v10, v6
	s_nop 0
	v_subb_co_u32_e64 v13, s[0:1], 0, 0, vcc
	v_mov_b32_e32 v1, 0
	v_mov_b32_e32 v7, v1
	v_or_b32_e32 v30, 0x1000, v6
	v_add_u32_e32 v34, 0x1400, v6
	v_add_u32_e32 v36, 0x1800, v6
	;; [unrolled: 1-line block ×3, first 2 shown]
	v_mov_b32_e32 v31, v1
	v_mov_b32_e32 v35, v1
	;; [unrolled: 1-line block ×4, first 2 shown]
	v_or_b32_e32 v11, 0x800, v2
	s_lshl_b64 s[0:1], s[8:9], 1
	s_add_u32 s0, s72, s0
	s_addc_u32 s1, s73, s1
	s_add_i32 s10, s10, -1
	s_cmp_lg_u32 s2, s10
	s_waitcnt vmcnt(0)
	v_lshl_add_u64 v[8:9], v[12:13], 0, v[8:9]
	ds_write_b64 v10, v[8:9]
	s_waitcnt lgkmcnt(0)
	s_barrier
	ds_read2st64_b32 v[8:9], v15 offset0:8 offset1:12
	ds_read2st64_b32 v[12:13], v15 offset0:16 offset1:20
	;; [unrolled: 1-line block ×6, first 2 shown]
	s_waitcnt lgkmcnt(5)
	v_lshrrev_b32_e32 v20, s80, v8
	v_xor_b32_e32 v25, 0x7fffffff, v8
	v_lshrrev_b32_e32 v8, s80, v9
	v_xor_b32_e32 v29, 0x7fffffff, v9
	s_waitcnt lgkmcnt(4)
	v_lshrrev_b32_e32 v9, s80, v12
	v_xor_b32_e32 v32, 0x7fffffff, v12
	v_lshrrev_b32_e32 v12, s80, v13
	v_xor_b32_e32 v39, 0x7fffffff, v13
	;; [unrolled: 5-line block ×4, first 2 shown]
	s_waitcnt lgkmcnt(1)
	v_lshrrev_b32_e32 v47, s80, v50
	v_and_b32_e32 v20, s11, v20
	v_and_b32_e32 v8, s11, v8
	;; [unrolled: 1-line block ×9, first 2 shown]
	v_lshlrev_b32_e32 v20, 3, v20
	v_lshlrev_b32_e32 v64, 3, v8
	;; [unrolled: 1-line block ×9, first 2 shown]
	ds_read_b64 v[8:9], v20
	ds_read_b64 v[12:13], v64
	;; [unrolled: 1-line block ×8, first 2 shown]
	s_waitcnt lgkmcnt(7)
	v_lshl_add_u64 v[8:9], v[8:9], 2, s[70:71]
	s_waitcnt lgkmcnt(6)
	v_lshl_add_u64 v[12:13], v[12:13], 2, s[70:71]
	;; [unrolled: 2-line block ×8, first 2 shown]
	v_lshl_add_u64 v[8:9], v[8:9], 0, v[6:7]
	v_lshl_add_u64 v[12:13], v[12:13], 0, v[6:7]
	;; [unrolled: 1-line block ×8, first 2 shown]
	global_store_dword v[8:9], v25, off
	global_store_dword v[12:13], v29, off offset:1024
	global_store_dword v[44:45], v32, off offset:2048
	;; [unrolled: 1-line block ×3, first 2 shown]
	global_store_dword v[30:31], v42, off
	global_store_dword v[34:35], v49, off
	;; [unrolled: 1-line block ×4, first 2 shown]
	v_lshrrev_b32_e32 v8, s80, v51
	v_and_b32_e32 v8, s11, v8
	ds_read_b64 v[6:7], v71
	v_lshlrev_b32_e32 v25, 3, v8
	v_lshrrev_b32_e32 v8, s80, v52
	v_and_b32_e32 v8, s11, v8
	v_lshlrev_b32_e32 v29, 3, v8
	v_lshrrev_b32_e32 v8, s80, v53
	v_and_b32_e32 v8, s11, v8
	v_lshlrev_b32_e32 v32, 3, v8
	ds_read_b64 v[8:9], v25
	ds_read_b64 v[12:13], v29
	;; [unrolled: 1-line block ×3, first 2 shown]
	s_waitcnt lgkmcnt(3)
	v_lshl_add_u64 v[6:7], v[6:7], 2, s[70:71]
	v_lshlrev_b32_e32 v34, 2, v11
	v_mov_b32_e32 v35, v1
	v_xor_b32_e32 v50, 0x7fffffff, v50
	v_lshl_add_u64 v[6:7], v[6:7], 0, v[34:35]
	v_add_u32_e32 v39, 0x900, v2
	global_store_dword v[6:7], v50, off
	s_waitcnt lgkmcnt(2)
	v_lshl_add_u64 v[6:7], v[8:9], 2, s[70:71]
	v_lshlrev_b32_e32 v8, 2, v39
	v_mov_b32_e32 v9, v1
	v_xor_b32_e32 v34, 0x7fffffff, v51
	v_lshl_add_u64 v[6:7], v[6:7], 0, v[8:9]
	global_store_dword v[6:7], v34, off
	v_lshlrev_b32_e32 v6, 1, v14
	v_mov_b32_e32 v7, v1
	v_lshl_add_u64 v[6:7], s[0:1], 0, v[6:7]
	v_lshlrev_b32_e32 v8, 1, v3
	v_lshl_add_u64 v[6:7], v[6:7], 0, v[8:9]
	global_load_ushort v3, v[6:7], off
	global_load_ushort v41, v[6:7], off offset:128
	global_load_ushort v42, v[6:7], off offset:256
	;; [unrolled: 1-line block ×7, first 2 shown]
	v_add_u32_e32 v40, 0xa00, v2
	s_waitcnt lgkmcnt(1)
	v_lshl_add_u64 v[8:9], v[12:13], 2, s[70:71]
	v_lshlrev_b32_e32 v12, 2, v40
	v_mov_b32_e32 v13, v1
	global_load_ushort v51, v[6:7], off offset:1024
	v_xor_b32_e32 v14, 0x7fffffff, v52
	v_lshl_add_u64 v[8:9], v[8:9], 0, v[12:13]
	global_load_ushort v52, v[6:7], off offset:1152
	v_add_u32_e32 v50, 0xb00, v2
	global_store_dword v[8:9], v14, off
	v_xor_b32_e32 v14, 0x7fffffff, v53
	global_load_ushort v53, v[6:7], off offset:1280
	global_load_ushort v54, v[6:7], off offset:1408
	;; [unrolled: 1-line block ×6, first 2 shown]
	s_waitcnt lgkmcnt(0)
	v_lshl_add_u64 v[8:9], v[30:31], 2, s[70:71]
	v_lshlrev_b32_e32 v12, 2, v50
	v_lshl_add_u64 v[8:9], v[8:9], 0, v[12:13]
	ds_read2st64_b32 v[12:13], v15 offset0:56 offset1:60
	global_store_dword v[8:9], v14, off
	v_or_b32_e32 v59, 0xc00, v2
	v_lshlrev_b32_e32 v36, 2, v59
	v_mov_b32_e32 v37, v1
	s_waitcnt lgkmcnt(0)
	v_lshrrev_b32_e32 v6, s80, v12
	v_and_b32_e32 v6, s11, v6
	v_lshlrev_b32_e32 v60, 3, v6
	ds_read2st64_b32 v[6:7], v15 offset0:64 offset1:68
	ds_read_b64 v[8:9], v60
	v_lshrrev_b32_e32 v14, s80, v13
	v_and_b32_e32 v14, s11, v14
	v_lshlrev_b32_e32 v61, 3, v14
	s_waitcnt lgkmcnt(1)
	v_lshrrev_b32_e32 v14, s80, v6
	v_and_b32_e32 v14, s11, v14
	v_lshlrev_b32_e32 v62, 3, v14
	v_lshrrev_b32_e32 v14, s80, v7
	v_and_b32_e32 v14, s11, v14
	v_lshlrev_b32_e32 v63, 3, v14
	ds_read_b64 v[14:15], v61
	ds_read_b64 v[30:31], v62
	;; [unrolled: 1-line block ×3, first 2 shown]
	s_waitcnt lgkmcnt(3)
	v_lshl_add_u64 v[8:9], v[8:9], 2, s[70:71]
	v_xor_b32_e32 v12, 0x7fffffff, v12
	v_lshl_add_u64 v[8:9], v[8:9], 0, v[36:37]
	v_add_u32_e32 v36, 0xd00, v2
	global_store_dword v[8:9], v12, off
	v_xor_b32_e32 v37, 0x7fffffff, v13
	s_waitcnt lgkmcnt(2)
	v_lshl_add_u64 v[8:9], v[14:15], 2, s[70:71]
	v_lshlrev_b32_e32 v12, 2, v36
	v_mov_b32_e32 v13, v1
	v_lshl_add_u64 v[8:9], v[8:9], 0, v[12:13]
	global_store_dword v[8:9], v37, off
	v_add_u32_e32 v37, 0xe00, v2
	s_waitcnt lgkmcnt(1)
	v_lshl_add_u64 v[8:9], v[30:31], 2, s[70:71]
	v_lshlrev_b32_e32 v12, 2, v37
	v_xor_b32_e32 v6, 0x7fffffff, v6
	v_lshl_add_u64 v[8:9], v[8:9], 0, v[12:13]
	v_add_u32_e32 v30, 0xf00, v2
	global_store_dword v[8:9], v6, off
	v_xor_b32_e32 v12, 0x7fffffff, v7
	s_waitcnt lgkmcnt(0)
	v_lshl_add_u64 v[6:7], v[34:35], 2, s[70:71]
	v_lshlrev_b32_e32 v8, 2, v30
	v_mov_b32_e32 v9, v1
	v_lshl_add_u64 v[6:7], v[6:7], 0, v[8:9]
	global_store_dword v[6:7], v12, off
	v_lshlrev_b32_e32 v6, 1, v48
	s_barrier
	v_lshlrev_b32_e32 v2, 1, v2
	s_waitcnt vmcnt(21)
	ds_write_b16 v6, v3 offset:2048
	v_lshlrev_b32_e32 v3, 1, v43
	s_waitcnt vmcnt(20)
	ds_write_b16 v3, v41 offset:2048
	;; [unrolled: 3-line block ×16, first 2 shown]
	s_waitcnt lgkmcnt(0)
	s_barrier
	ds_read_b64 v[6:7], v20
	ds_read_b64 v[8:9], v64
	;; [unrolled: 1-line block ×4, first 2 shown]
	v_mov_b32_e32 v3, v1
	ds_read_u16 v5, v2 offset:2048
	ds_read_u16 v16, v2 offset:2560
	ds_read_u16 v17, v2 offset:3072
	ds_read_u16 v18, v2 offset:3584
	ds_read_u16 v19, v2 offset:4096
	ds_read_u16 v20, v2 offset:4608
	ds_read_u16 v21, v2 offset:5120
	ds_read_u16 v22, v2 offset:5632
	s_waitcnt lgkmcnt(11)
	v_lshl_add_u64 v[6:7], v[6:7], 1, s[74:75]
	v_lshl_add_u64 v[6:7], v[6:7], 0, v[2:3]
	s_waitcnt lgkmcnt(7)
	global_store_short v[6:7], v5, off
	v_lshl_add_u64 v[6:7], v[8:9], 1, s[74:75]
	v_lshl_add_u64 v[6:7], v[6:7], 0, v[2:3]
	s_waitcnt lgkmcnt(6)
	global_store_short v[6:7], v16, off offset:512
	v_lshl_add_u64 v[6:7], v[12:13], 1, s[74:75]
	v_lshl_add_u64 v[6:7], v[6:7], 0, v[2:3]
	s_waitcnt lgkmcnt(5)
	global_store_short v[6:7], v17, off offset:1024
	v_lshl_add_u64 v[6:7], v[14:15], 1, s[74:75]
	v_lshl_add_u64 v[6:7], v[6:7], 0, v[2:3]
	ds_read_b64 v[8:9], v67
	s_waitcnt lgkmcnt(5)
	global_store_short v[6:7], v18, off offset:1536
	ds_read_b64 v[6:7], v68
	ds_read_b64 v[12:13], v69
	ds_read_b64 v[14:15], v70
	v_lshlrev_b32_e32 v16, 1, v11
	v_mov_b32_e32 v17, v1
	s_waitcnt lgkmcnt(3)
	v_lshl_add_u64 v[8:9], v[8:9], 1, s[74:75]
	s_waitcnt lgkmcnt(2)
	v_lshl_add_u64 v[6:7], v[6:7], 1, s[74:75]
	v_lshl_add_u64 v[8:9], v[8:9], 0, v[2:3]
	;; [unrolled: 1-line block ×3, first 2 shown]
	global_store_short v[8:9], v19, off offset:2048
	global_store_short v[6:7], v20, off offset:2560
	s_waitcnt lgkmcnt(1)
	v_lshl_add_u64 v[6:7], v[12:13], 1, s[74:75]
	v_lshl_add_u64 v[6:7], v[6:7], 0, v[2:3]
	ds_read_b64 v[8:9], v71
	global_store_short v[6:7], v21, off offset:3072
	s_waitcnt lgkmcnt(1)
	v_lshl_add_u64 v[6:7], v[14:15], 1, s[74:75]
	v_lshl_add_u64 v[6:7], v[6:7], 0, v[2:3]
	global_store_short v[6:7], v22, off offset:3584
	ds_read_b64 v[6:7], v25
	ds_read_b64 v[12:13], v29
	;; [unrolled: 1-line block ×3, first 2 shown]
	s_waitcnt lgkmcnt(3)
	v_lshl_add_u64 v[8:9], v[8:9], 1, s[74:75]
	v_lshl_add_u64 v[8:9], v[8:9], 0, v[16:17]
	ds_read_u16 v3, v2 offset:6144
	ds_read_u16 v5, v2 offset:6656
	;; [unrolled: 1-line block ×8, first 2 shown]
	s_waitcnt lgkmcnt(7)
	global_store_short v[8:9], v3, off
	v_lshl_add_u64 v[2:3], v[6:7], 1, s[74:75]
	v_lshlrev_b32_e32 v6, 1, v39
	v_mov_b32_e32 v7, v1
	v_lshl_add_u64 v[2:3], v[2:3], 0, v[6:7]
	s_waitcnt lgkmcnt(6)
	global_store_short v[2:3], v5, off
	v_lshl_add_u64 v[2:3], v[12:13], 1, s[74:75]
	v_lshlrev_b32_e32 v6, 1, v40
	v_lshl_add_u64 v[2:3], v[2:3], 0, v[6:7]
	s_waitcnt lgkmcnt(5)
	global_store_short v[2:3], v11, off
	v_lshl_add_u64 v[2:3], v[14:15], 1, s[74:75]
	v_lshlrev_b32_e32 v6, 1, v50
	v_lshl_add_u64 v[2:3], v[2:3], 0, v[6:7]
	ds_read_b64 v[6:7], v60
	s_waitcnt lgkmcnt(5)
	global_store_short v[2:3], v16, off
	ds_read_b64 v[2:3], v61
	ds_read_b64 v[8:9], v62
	;; [unrolled: 1-line block ×3, first 2 shown]
	v_lshlrev_b32_e32 v14, 1, v59
	v_mov_b32_e32 v15, v1
	s_waitcnt lgkmcnt(3)
	v_lshl_add_u64 v[6:7], v[6:7], 1, s[74:75]
	v_lshl_add_u64 v[6:7], v[6:7], 0, v[14:15]
	global_store_short v[6:7], v17, off
	s_waitcnt lgkmcnt(2)
	v_lshl_add_u64 v[2:3], v[2:3], 1, s[74:75]
	v_lshlrev_b32_e32 v6, 1, v36
	v_mov_b32_e32 v7, v1
	v_lshl_add_u64 v[2:3], v[2:3], 0, v[6:7]
	global_store_short v[2:3], v18, off
	s_waitcnt lgkmcnt(1)
	v_lshl_add_u64 v[2:3], v[8:9], 1, s[74:75]
	v_lshlrev_b32_e32 v6, 1, v37
	v_lshl_add_u64 v[2:3], v[2:3], 0, v[6:7]
	global_store_short v[2:3], v19, off
	s_waitcnt lgkmcnt(0)
	v_lshl_add_u64 v[2:3], v[12:13], 1, s[74:75]
	v_lshlrev_b32_e32 v6, 1, v30
	v_lshl_add_u64 v[2:3], v[2:3], 0, v[6:7]
	global_store_short v[2:3], v20, off
	s_cbranch_scc1 .LBB15_247
; %bb.246:
	ds_read_b64 v[2:3], v10
	v_mov_b32_e32 v5, v1
	v_lshl_add_u64 v[0:1], v[4:5], 0, v[0:1]
	s_waitcnt lgkmcnt(0)
	v_lshl_add_u64 v[0:1], v[0:1], 0, v[2:3]
	global_store_dwordx2 v10, v[0:1], s[78:79]
.LBB15_247:
	s_endpgm
.LBB15_248:
	s_or_b64 exec, exec, s[4:5]
	s_and_saveexec_b64 s[4:5], s[36:37]
	s_cbranch_execz .LBB15_179
.LBB15_249:
	v_lshlrev_b32_e32 v7, 3, v41
	ds_read_b64 v[26:27], v7
	v_lshlrev_b32_e32 v28, 1, v2
	ds_read_u16 v7, v28 offset:2560
	v_mov_b32_e32 v29, 0
	s_waitcnt lgkmcnt(1)
	v_lshl_add_u64 v[26:27], v[26:27], 1, s[74:75]
	v_lshl_add_u64 v[26:27], v[26:27], 0, v[28:29]
	s_waitcnt lgkmcnt(0)
	global_store_short v[26:27], v7, off offset:512
	s_or_b64 exec, exec, s[4:5]
	s_and_saveexec_b64 s[4:5], s[38:39]
	s_cbranch_execnz .LBB15_180
.LBB15_250:
	s_or_b64 exec, exec, s[4:5]
	s_and_saveexec_b64 s[4:5], s[40:41]
	s_cbranch_execz .LBB15_181
.LBB15_251:
	v_lshlrev_b32_e32 v7, 3, v38
	ds_read_b64 v[26:27], v7
	v_lshlrev_b32_e32 v28, 1, v2
	ds_read_u16 v7, v28 offset:3584
	v_mov_b32_e32 v29, 0
	s_waitcnt lgkmcnt(1)
	v_lshl_add_u64 v[26:27], v[26:27], 1, s[74:75]
	v_lshl_add_u64 v[26:27], v[26:27], 0, v[28:29]
	s_waitcnt lgkmcnt(0)
	global_store_short v[26:27], v7, off offset:1536
	s_or_b64 exec, exec, s[4:5]
	s_and_saveexec_b64 s[4:5], s[42:43]
	s_cbranch_execnz .LBB15_182
.LBB15_252:
	s_or_b64 exec, exec, s[4:5]
	s_and_saveexec_b64 s[4:5], s[44:45]
	s_cbranch_execz .LBB15_183
.LBB15_253:
	v_lshlrev_b32_e32 v7, 3, v24
	ds_read_b64 v[24:25], v7
	v_lshlrev_b32_e32 v26, 1, v2
	ds_read_u16 v7, v26 offset:4608
	v_mov_b32_e32 v27, 0
	s_waitcnt lgkmcnt(1)
	v_lshl_add_u64 v[24:25], v[24:25], 1, s[74:75]
	v_lshl_add_u64 v[24:25], v[24:25], 0, v[26:27]
	s_waitcnt lgkmcnt(0)
	global_store_short v[24:25], v7, off offset:2560
	s_or_b64 exec, exec, s[4:5]
	s_and_saveexec_b64 s[4:5], s[46:47]
	s_cbranch_execnz .LBB15_184
.LBB15_254:
	s_or_b64 exec, exec, s[4:5]
	s_and_saveexec_b64 s[4:5], s[48:49]
	s_cbranch_execz .LBB15_185
.LBB15_255:
	v_lshlrev_b32_e32 v7, 3, v23
	ds_read_b64 v[24:25], v7
	v_lshlrev_b32_e32 v26, 1, v2
	ds_read_u16 v7, v26 offset:5632
	v_mov_b32_e32 v27, 0
	s_waitcnt lgkmcnt(1)
	v_lshl_add_u64 v[24:25], v[24:25], 1, s[74:75]
	v_lshl_add_u64 v[24:25], v[24:25], 0, v[26:27]
	s_waitcnt lgkmcnt(0)
	global_store_short v[24:25], v7, off offset:3584
	s_or_b64 exec, exec, s[4:5]
	s_and_saveexec_b64 s[4:5], s[50:51]
	s_cbranch_execnz .LBB15_186
.LBB15_256:
	s_or_b64 exec, exec, s[4:5]
	s_and_saveexec_b64 s[4:5], s[52:53]
	s_cbranch_execz .LBB15_187
.LBB15_257:
	v_lshlrev_b32_e32 v7, 3, v21
	ds_read_b64 v[24:25], v7
	v_lshlrev_b32_e32 v7, 1, v2
	ds_read_u16 v7, v7 offset:6656
	v_lshlrev_b32_e32 v26, 1, v12
	v_mov_b32_e32 v27, 0
	s_waitcnt lgkmcnt(1)
	v_lshl_add_u64 v[24:25], v[24:25], 1, s[74:75]
	v_lshl_add_u64 v[24:25], v[24:25], 0, v[26:27]
	s_waitcnt lgkmcnt(0)
	global_store_short v[24:25], v7, off
	s_or_b64 exec, exec, s[4:5]
	s_and_saveexec_b64 s[4:5], s[54:55]
	s_cbranch_execnz .LBB15_188
.LBB15_258:
	s_or_b64 exec, exec, s[4:5]
	s_and_saveexec_b64 s[4:5], s[56:57]
	s_cbranch_execz .LBB15_189
.LBB15_259:
	v_lshlrev_b32_e32 v7, 3, v14
	ds_read_b64 v[12:13], v7
	v_lshlrev_b32_e32 v7, 1, v2
	ds_read_u16 v7, v7 offset:7680
	v_lshlrev_b32_e32 v14, 1, v15
	v_mov_b32_e32 v15, 0
	s_waitcnt lgkmcnt(1)
	v_lshl_add_u64 v[12:13], v[12:13], 1, s[74:75]
	v_lshl_add_u64 v[12:13], v[12:13], 0, v[14:15]
	s_waitcnt lgkmcnt(0)
	global_store_short v[12:13], v7, off
	s_or_b64 exec, exec, s[4:5]
	s_and_saveexec_b64 s[4:5], s[58:59]
	s_cbranch_execnz .LBB15_190
.LBB15_260:
	s_or_b64 exec, exec, s[4:5]
	s_and_saveexec_b64 s[4:5], s[60:61]
	s_cbranch_execz .LBB15_191
.LBB15_261:
	v_lshlrev_b32_e32 v7, 3, v8
	ds_read_b64 v[12:13], v7
	v_lshlrev_b32_e32 v7, 1, v2
	ds_read_u16 v7, v7 offset:8704
	v_lshlrev_b32_e32 v14, 1, v17
	v_mov_b32_e32 v15, 0
	s_waitcnt lgkmcnt(1)
	v_lshl_add_u64 v[12:13], v[12:13], 1, s[74:75]
	v_lshl_add_u64 v[12:13], v[12:13], 0, v[14:15]
	s_waitcnt lgkmcnt(0)
	global_store_short v[12:13], v7, off
	s_or_b64 exec, exec, s[4:5]
	s_and_saveexec_b64 s[4:5], s[62:63]
	s_cbranch_execnz .LBB15_192
.LBB15_262:
	s_or_b64 exec, exec, s[4:5]
	s_and_saveexec_b64 s[4:5], s[64:65]
	s_cbranch_execz .LBB15_193
.LBB15_263:
	v_lshlrev_b32_e32 v3, 3, v3
	ds_read_b64 v[8:9], v3
	v_lshlrev_b32_e32 v2, 1, v2
	ds_read_u16 v7, v2 offset:9728
	v_lshlrev_b32_e32 v2, 1, v19
	v_mov_b32_e32 v3, 0
	s_waitcnt lgkmcnt(1)
	v_lshl_add_u64 v[8:9], v[8:9], 1, s[74:75]
	v_lshl_add_u64 v[2:3], v[8:9], 0, v[2:3]
	s_waitcnt lgkmcnt(0)
	global_store_short v[2:3], v7, off
	s_or_b64 exec, exec, s[4:5]
	s_add_i32 s33, s33, -1
	s_cmp_eq_u32 s2, s33
	s_cbranch_scc1 .LBB15_194
	s_branch .LBB15_195
	.section	.rodata,"a",@progbits
	.p2align	6, 0x0
	.amdhsa_kernel _ZN7rocprim17ROCPRIM_304000_NS6detail25onesweep_iteration_kernelINS1_34wrapped_radix_sort_onesweep_configINS0_14default_configEiN2at4cuda3cub6detail10OpaqueTypeILi2EEEEELb1EPiSC_PSA_SD_mNS0_19identity_decomposerEEEvT1_T2_T3_T4_jPT5_SK_PNS1_23onesweep_lookback_stateET6_jjj
		.amdhsa_group_segment_fixed_size 18432
		.amdhsa_private_segment_fixed_size 0
		.amdhsa_kernarg_size 336
		.amdhsa_user_sgpr_count 2
		.amdhsa_user_sgpr_dispatch_ptr 0
		.amdhsa_user_sgpr_queue_ptr 0
		.amdhsa_user_sgpr_kernarg_segment_ptr 1
		.amdhsa_user_sgpr_dispatch_id 0
		.amdhsa_user_sgpr_kernarg_preload_length 0
		.amdhsa_user_sgpr_kernarg_preload_offset 0
		.amdhsa_user_sgpr_private_segment_size 0
		.amdhsa_uses_dynamic_stack 0
		.amdhsa_enable_private_segment 0
		.amdhsa_system_sgpr_workgroup_id_x 1
		.amdhsa_system_sgpr_workgroup_id_y 0
		.amdhsa_system_sgpr_workgroup_id_z 0
		.amdhsa_system_sgpr_workgroup_info 0
		.amdhsa_system_vgpr_workitem_id 2
		.amdhsa_next_free_vgpr 79
		.amdhsa_next_free_sgpr 89
		.amdhsa_accum_offset 80
		.amdhsa_reserve_vcc 1
		.amdhsa_float_round_mode_32 0
		.amdhsa_float_round_mode_16_64 0
		.amdhsa_float_denorm_mode_32 3
		.amdhsa_float_denorm_mode_16_64 3
		.amdhsa_dx10_clamp 1
		.amdhsa_ieee_mode 1
		.amdhsa_fp16_overflow 0
		.amdhsa_tg_split 0
		.amdhsa_exception_fp_ieee_invalid_op 0
		.amdhsa_exception_fp_denorm_src 0
		.amdhsa_exception_fp_ieee_div_zero 0
		.amdhsa_exception_fp_ieee_overflow 0
		.amdhsa_exception_fp_ieee_underflow 0
		.amdhsa_exception_fp_ieee_inexact 0
		.amdhsa_exception_int_div_zero 0
	.end_amdhsa_kernel
	.section	.text._ZN7rocprim17ROCPRIM_304000_NS6detail25onesweep_iteration_kernelINS1_34wrapped_radix_sort_onesweep_configINS0_14default_configEiN2at4cuda3cub6detail10OpaqueTypeILi2EEEEELb1EPiSC_PSA_SD_mNS0_19identity_decomposerEEEvT1_T2_T3_T4_jPT5_SK_PNS1_23onesweep_lookback_stateET6_jjj,"axG",@progbits,_ZN7rocprim17ROCPRIM_304000_NS6detail25onesweep_iteration_kernelINS1_34wrapped_radix_sort_onesweep_configINS0_14default_configEiN2at4cuda3cub6detail10OpaqueTypeILi2EEEEELb1EPiSC_PSA_SD_mNS0_19identity_decomposerEEEvT1_T2_T3_T4_jPT5_SK_PNS1_23onesweep_lookback_stateET6_jjj,comdat
.Lfunc_end15:
	.size	_ZN7rocprim17ROCPRIM_304000_NS6detail25onesweep_iteration_kernelINS1_34wrapped_radix_sort_onesweep_configINS0_14default_configEiN2at4cuda3cub6detail10OpaqueTypeILi2EEEEELb1EPiSC_PSA_SD_mNS0_19identity_decomposerEEEvT1_T2_T3_T4_jPT5_SK_PNS1_23onesweep_lookback_stateET6_jjj, .Lfunc_end15-_ZN7rocprim17ROCPRIM_304000_NS6detail25onesweep_iteration_kernelINS1_34wrapped_radix_sort_onesweep_configINS0_14default_configEiN2at4cuda3cub6detail10OpaqueTypeILi2EEEEELb1EPiSC_PSA_SD_mNS0_19identity_decomposerEEEvT1_T2_T3_T4_jPT5_SK_PNS1_23onesweep_lookback_stateET6_jjj
                                        ; -- End function
	.set _ZN7rocprim17ROCPRIM_304000_NS6detail25onesweep_iteration_kernelINS1_34wrapped_radix_sort_onesweep_configINS0_14default_configEiN2at4cuda3cub6detail10OpaqueTypeILi2EEEEELb1EPiSC_PSA_SD_mNS0_19identity_decomposerEEEvT1_T2_T3_T4_jPT5_SK_PNS1_23onesweep_lookback_stateET6_jjj.num_vgpr, 79
	.set _ZN7rocprim17ROCPRIM_304000_NS6detail25onesweep_iteration_kernelINS1_34wrapped_radix_sort_onesweep_configINS0_14default_configEiN2at4cuda3cub6detail10OpaqueTypeILi2EEEEELb1EPiSC_PSA_SD_mNS0_19identity_decomposerEEEvT1_T2_T3_T4_jPT5_SK_PNS1_23onesweep_lookback_stateET6_jjj.num_agpr, 0
	.set _ZN7rocprim17ROCPRIM_304000_NS6detail25onesweep_iteration_kernelINS1_34wrapped_radix_sort_onesweep_configINS0_14default_configEiN2at4cuda3cub6detail10OpaqueTypeILi2EEEEELb1EPiSC_PSA_SD_mNS0_19identity_decomposerEEEvT1_T2_T3_T4_jPT5_SK_PNS1_23onesweep_lookback_stateET6_jjj.numbered_sgpr, 89
	.set _ZN7rocprim17ROCPRIM_304000_NS6detail25onesweep_iteration_kernelINS1_34wrapped_radix_sort_onesweep_configINS0_14default_configEiN2at4cuda3cub6detail10OpaqueTypeILi2EEEEELb1EPiSC_PSA_SD_mNS0_19identity_decomposerEEEvT1_T2_T3_T4_jPT5_SK_PNS1_23onesweep_lookback_stateET6_jjj.num_named_barrier, 0
	.set _ZN7rocprim17ROCPRIM_304000_NS6detail25onesweep_iteration_kernelINS1_34wrapped_radix_sort_onesweep_configINS0_14default_configEiN2at4cuda3cub6detail10OpaqueTypeILi2EEEEELb1EPiSC_PSA_SD_mNS0_19identity_decomposerEEEvT1_T2_T3_T4_jPT5_SK_PNS1_23onesweep_lookback_stateET6_jjj.private_seg_size, 0
	.set _ZN7rocprim17ROCPRIM_304000_NS6detail25onesweep_iteration_kernelINS1_34wrapped_radix_sort_onesweep_configINS0_14default_configEiN2at4cuda3cub6detail10OpaqueTypeILi2EEEEELb1EPiSC_PSA_SD_mNS0_19identity_decomposerEEEvT1_T2_T3_T4_jPT5_SK_PNS1_23onesweep_lookback_stateET6_jjj.uses_vcc, 1
	.set _ZN7rocprim17ROCPRIM_304000_NS6detail25onesweep_iteration_kernelINS1_34wrapped_radix_sort_onesweep_configINS0_14default_configEiN2at4cuda3cub6detail10OpaqueTypeILi2EEEEELb1EPiSC_PSA_SD_mNS0_19identity_decomposerEEEvT1_T2_T3_T4_jPT5_SK_PNS1_23onesweep_lookback_stateET6_jjj.uses_flat_scratch, 0
	.set _ZN7rocprim17ROCPRIM_304000_NS6detail25onesweep_iteration_kernelINS1_34wrapped_radix_sort_onesweep_configINS0_14default_configEiN2at4cuda3cub6detail10OpaqueTypeILi2EEEEELb1EPiSC_PSA_SD_mNS0_19identity_decomposerEEEvT1_T2_T3_T4_jPT5_SK_PNS1_23onesweep_lookback_stateET6_jjj.has_dyn_sized_stack, 0
	.set _ZN7rocprim17ROCPRIM_304000_NS6detail25onesweep_iteration_kernelINS1_34wrapped_radix_sort_onesweep_configINS0_14default_configEiN2at4cuda3cub6detail10OpaqueTypeILi2EEEEELb1EPiSC_PSA_SD_mNS0_19identity_decomposerEEEvT1_T2_T3_T4_jPT5_SK_PNS1_23onesweep_lookback_stateET6_jjj.has_recursion, 0
	.set _ZN7rocprim17ROCPRIM_304000_NS6detail25onesweep_iteration_kernelINS1_34wrapped_radix_sort_onesweep_configINS0_14default_configEiN2at4cuda3cub6detail10OpaqueTypeILi2EEEEELb1EPiSC_PSA_SD_mNS0_19identity_decomposerEEEvT1_T2_T3_T4_jPT5_SK_PNS1_23onesweep_lookback_stateET6_jjj.has_indirect_call, 0
	.section	.AMDGPU.csdata,"",@progbits
; Kernel info:
; codeLenInByte = 24668
; TotalNumSgprs: 95
; NumVgprs: 79
; NumAgprs: 0
; TotalNumVgprs: 79
; ScratchSize: 0
; MemoryBound: 0
; FloatMode: 240
; IeeeMode: 1
; LDSByteSize: 18432 bytes/workgroup (compile time only)
; SGPRBlocks: 11
; VGPRBlocks: 9
; NumSGPRsForWavesPerEU: 95
; NumVGPRsForWavesPerEU: 79
; AccumOffset: 80
; Occupancy: 6
; WaveLimiterHint : 1
; COMPUTE_PGM_RSRC2:SCRATCH_EN: 0
; COMPUTE_PGM_RSRC2:USER_SGPR: 2
; COMPUTE_PGM_RSRC2:TRAP_HANDLER: 0
; COMPUTE_PGM_RSRC2:TGID_X_EN: 1
; COMPUTE_PGM_RSRC2:TGID_Y_EN: 0
; COMPUTE_PGM_RSRC2:TGID_Z_EN: 0
; COMPUTE_PGM_RSRC2:TIDIG_COMP_CNT: 2
; COMPUTE_PGM_RSRC3_GFX90A:ACCUM_OFFSET: 19
; COMPUTE_PGM_RSRC3_GFX90A:TG_SPLIT: 0
	.section	.text._ZN7rocprim17ROCPRIM_304000_NS6detail28radix_sort_block_sort_kernelINS1_36wrapped_radix_sort_block_sort_configINS0_13kernel_configILj256ELj4ELj4294967295EEEiN2at4cuda3cub6detail10OpaqueTypeILi2EEEEELb0EPKiPiPKSB_PSB_NS0_19identity_decomposerEEEvT1_T2_T3_T4_jT5_jj,"axG",@progbits,_ZN7rocprim17ROCPRIM_304000_NS6detail28radix_sort_block_sort_kernelINS1_36wrapped_radix_sort_block_sort_configINS0_13kernel_configILj256ELj4ELj4294967295EEEiN2at4cuda3cub6detail10OpaqueTypeILi2EEEEELb0EPKiPiPKSB_PSB_NS0_19identity_decomposerEEEvT1_T2_T3_T4_jT5_jj,comdat
	.protected	_ZN7rocprim17ROCPRIM_304000_NS6detail28radix_sort_block_sort_kernelINS1_36wrapped_radix_sort_block_sort_configINS0_13kernel_configILj256ELj4ELj4294967295EEEiN2at4cuda3cub6detail10OpaqueTypeILi2EEEEELb0EPKiPiPKSB_PSB_NS0_19identity_decomposerEEEvT1_T2_T3_T4_jT5_jj ; -- Begin function _ZN7rocprim17ROCPRIM_304000_NS6detail28radix_sort_block_sort_kernelINS1_36wrapped_radix_sort_block_sort_configINS0_13kernel_configILj256ELj4ELj4294967295EEEiN2at4cuda3cub6detail10OpaqueTypeILi2EEEEELb0EPKiPiPKSB_PSB_NS0_19identity_decomposerEEEvT1_T2_T3_T4_jT5_jj
	.globl	_ZN7rocprim17ROCPRIM_304000_NS6detail28radix_sort_block_sort_kernelINS1_36wrapped_radix_sort_block_sort_configINS0_13kernel_configILj256ELj4ELj4294967295EEEiN2at4cuda3cub6detail10OpaqueTypeILi2EEEEELb0EPKiPiPKSB_PSB_NS0_19identity_decomposerEEEvT1_T2_T3_T4_jT5_jj
	.p2align	8
	.type	_ZN7rocprim17ROCPRIM_304000_NS6detail28radix_sort_block_sort_kernelINS1_36wrapped_radix_sort_block_sort_configINS0_13kernel_configILj256ELj4ELj4294967295EEEiN2at4cuda3cub6detail10OpaqueTypeILi2EEEEELb0EPKiPiPKSB_PSB_NS0_19identity_decomposerEEEvT1_T2_T3_T4_jT5_jj,@function
_ZN7rocprim17ROCPRIM_304000_NS6detail28radix_sort_block_sort_kernelINS1_36wrapped_radix_sort_block_sort_configINS0_13kernel_configILj256ELj4ELj4294967295EEEiN2at4cuda3cub6detail10OpaqueTypeILi2EEEEELb0EPKiPiPKSB_PSB_NS0_19identity_decomposerEEEvT1_T2_T3_T4_jT5_jj: ; @_ZN7rocprim17ROCPRIM_304000_NS6detail28radix_sort_block_sort_kernelINS1_36wrapped_radix_sort_block_sort_configINS0_13kernel_configILj256ELj4ELj4294967295EEEiN2at4cuda3cub6detail10OpaqueTypeILi2EEEEELb0EPKiPiPKSB_PSB_NS0_19identity_decomposerEEEvT1_T2_T3_T4_jT5_jj
; %bb.0:
	s_load_dword s4, s[0:1], 0x20
	s_load_dwordx8 s[36:43], s[0:1], 0x0
	s_lshl_b32 s28, s2, 10
	s_mov_b32 s29, 0
	v_and_b32_e32 v6, 0x3ff, v0
	s_waitcnt lgkmcnt(0)
	s_lshr_b32 s3, s4, 10
	s_cmp_lg_u32 s2, s3
	s_cselect_b64 s[30:31], -1, 0
	s_lshl_b64 s[34:35], s[28:29], 2
	v_mbcnt_lo_u32_b32 v1, -1, 0
	s_add_u32 s6, s36, s34
	v_mbcnt_hi_u32_b32 v1, -1, v1
	v_lshlrev_b32_e32 v8, 2, v6
	s_addc_u32 s7, s37, s35
	v_and_b32_e32 v9, 0x300, v8
	v_mov_b32_e32 v11, 0
	v_lshlrev_b32_e32 v10, 2, v1
	v_lshl_add_u64 v[2:3], s[6:7], 0, v[10:11]
	v_lshlrev_b32_e32 v10, 2, v9
	s_cmp_eq_u32 s2, s3
	v_lshl_add_u64 v[14:15], v[2:3], 0, v[10:11]
	v_lshlrev_b32_e32 v10, 1, v1
	v_lshlrev_b32_e32 v12, 1, v9
	v_add_u32_e32 v7, v1, v9
	s_cbranch_scc1 .LBB16_2
; %bb.1:
	s_lshl_b64 s[2:3], s[28:29], 1
	s_add_u32 s2, s40, s2
	s_addc_u32 s3, s41, s3
	v_lshl_add_u64 v[16:17], s[2:3], 0, v[10:11]
	v_mov_b32_e32 v13, v11
	v_lshl_add_u64 v[16:17], v[16:17], 0, v[12:13]
	global_load_dword v2, v[14:15], off
	global_load_dword v3, v[14:15], off offset:256
	global_load_dword v4, v[14:15], off offset:512
	;; [unrolled: 1-line block ×3, first 2 shown]
	global_load_ushort v41, v[16:17], off
	global_load_ushort v42, v[16:17], off offset:128
	global_load_ushort v43, v[16:17], off offset:256
	;; [unrolled: 1-line block ×3, first 2 shown]
	v_add_u32_e32 v11, v1, v9
	v_add_u32_e32 v22, 64, v11
	;; [unrolled: 1-line block ×4, first 2 shown]
	s_sub_i32 s33, s4, s28
	s_cbranch_execz .LBB16_3
	s_branch .LBB16_17
.LBB16_2:
                                        ; implicit-def: $vgpr2_vgpr3_vgpr4_vgpr5
                                        ; implicit-def: $vgpr41
                                        ; implicit-def: $vgpr42
                                        ; implicit-def: $vgpr43
                                        ; implicit-def: $vgpr44
                                        ; implicit-def: $vgpr11
                                        ; implicit-def: $vgpr22
                                        ; implicit-def: $vgpr23
                                        ; implicit-def: $vgpr24
	s_sub_i32 s33, s4, s28
.LBB16_3:
	s_waitcnt vmcnt(7)
	v_bfrev_b32_e32 v2, -2
	v_cmp_gt_u32_e32 vcc, s33, v7
	s_waitcnt vmcnt(6)
	v_mov_b32_e32 v3, v2
	s_waitcnt vmcnt(5)
	v_mov_b32_e32 v4, v2
	;; [unrolled: 2-line block ×3, first 2 shown]
	s_and_saveexec_b64 s[2:3], vcc
	s_cbranch_execz .LBB16_5
; %bb.4:
	global_load_dword v16, v[14:15], off
	v_mov_b32_e32 v17, v2
	v_mov_b32_e32 v18, v2
	;; [unrolled: 1-line block ×3, first 2 shown]
	s_waitcnt vmcnt(0)
	v_mov_b64_e32 v[2:3], v[16:17]
	v_mov_b64_e32 v[4:5], v[18:19]
.LBB16_5:
	s_or_b64 exec, exec, s[2:3]
	v_add_u32_e32 v22, 64, v7
	v_cmp_gt_u32_e64 s[2:3], s33, v22
	s_and_saveexec_b64 s[4:5], s[2:3]
	s_cbranch_execz .LBB16_7
; %bb.6:
	global_load_dword v3, v[14:15], off offset:256
.LBB16_7:
	s_or_b64 exec, exec, s[4:5]
	v_add_u32_e32 v23, 0x80, v7
	v_cmp_gt_u32_e64 s[4:5], s33, v23
	s_and_saveexec_b64 s[6:7], s[4:5]
	s_cbranch_execz .LBB16_9
; %bb.8:
	global_load_dword v4, v[14:15], off offset:512
.LBB16_9:
	;; [unrolled: 8-line block ×3, first 2 shown]
	s_or_b64 exec, exec, s[8:9]
	s_lshl_b64 s[8:9], s[28:29], 1
	s_add_u32 s8, s40, s8
	s_addc_u32 s9, s41, s9
	v_mov_b32_e32 v11, 0
	v_lshl_add_u64 v[14:15], s[8:9], 0, v[10:11]
	v_mov_b32_e32 v13, v11
	v_lshl_add_u64 v[10:11], v[14:15], 0, v[12:13]
                                        ; implicit-def: $vgpr41
	s_and_saveexec_b64 s[8:9], vcc
	s_cbranch_execnz .LBB16_54
; %bb.12:
	s_or_b64 exec, exec, s[8:9]
                                        ; implicit-def: $vgpr42
	s_and_saveexec_b64 s[8:9], s[2:3]
	s_cbranch_execnz .LBB16_55
.LBB16_13:
	s_or_b64 exec, exec, s[8:9]
                                        ; implicit-def: $vgpr43
	s_and_saveexec_b64 s[2:3], s[4:5]
	s_cbranch_execnz .LBB16_56
.LBB16_14:
	s_or_b64 exec, exec, s[2:3]
                                        ; implicit-def: $vgpr44
	s_and_saveexec_b64 s[2:3], s[6:7]
	s_cbranch_execz .LBB16_16
.LBB16_15:
	global_load_ushort v44, v[10:11], off offset:384
.LBB16_16:
	s_or_b64 exec, exec, s[2:3]
	v_mov_b32_e32 v11, v7
.LBB16_17:
	s_load_dwordx2 s[36:37], s[0:1], 0x28
	s_waitcnt vmcnt(0)
	v_xor_b32_e32 v12, 0x80000000, v4
	s_load_dword s0, s[0:1], 0x3c
	v_bfe_u32 v4, v0, 10, 10
	v_bfe_u32 v0, v0, 20, 10
	v_xor_b32_e32 v34, 0x80000000, v5
	s_mov_b32 s26, 0
	s_waitcnt lgkmcnt(0)
	s_lshr_b32 s1, s0, 16
	s_and_b32 s0, s0, 0xffff
	v_mad_u32_u24 v0, v0, s1, v4
	v_mad_u64_u32 v[4:5], s[0:1], v0, s0, v[6:7]
	v_lshrrev_b32_e32 v0, 4, v4
	v_and_b32_e32 v9, 0xffffffc, v0
	v_and_b32_e32 v0, 15, v1
	v_cmp_eq_u32_e64 s[0:1], 0, v0
	v_cmp_lt_u32_e64 s[2:3], 1, v0
	v_cmp_lt_u32_e64 s[4:5], 3, v0
	;; [unrolled: 1-line block ×3, first 2 shown]
	v_and_b32_e32 v0, 16, v1
	v_cmp_eq_u32_e64 s[8:9], 0, v0
	v_and_b32_e32 v0, 0x3c0, v6
	v_min_u32_e32 v0, 0xc0, v0
	v_or_b32_e32 v0, 63, v0
	v_cmp_eq_u32_e64 s[12:13], v6, v0
	v_subrev_co_u32_e64 v0, s[18:19], 1, v1
	v_and_b32_e32 v4, 64, v1
	v_cmp_lt_i32_e32 vcc, v0, v4
	v_lshlrev_b32_e32 v4, 1, v23
	v_cmp_lt_u32_e64 s[10:11], 31, v1
	v_cndmask_b32_e32 v0, v0, v1, vcc
	v_lshlrev_b32_e32 v15, 2, v0
	v_lshrrev_b32_e32 v0, 4, v6
	v_and_b32_e32 v16, 60, v0
	v_and_b32_e32 v0, 3, v1
	v_cmp_eq_u32_e64 s[22:23], 0, v0
	v_cmp_lt_u32_e64 s[24:25], 1, v0
	v_lshlrev_b32_e32 v19, 2, v22
	v_lshlrev_b32_e32 v0, 1, v11
	;; [unrolled: 1-line block ×3, first 2 shown]
	v_sub_u32_e32 v22, 0, v4
	v_lshlrev_b32_e32 v4, 1, v24
	v_lshlrev_b32_e32 v18, 2, v11
	;; [unrolled: 1-line block ×4, first 2 shown]
	v_sub_u32_e32 v0, 0, v0
	v_sub_u32_e32 v1, 0, v1
	;; [unrolled: 1-line block ×3, first 2 shown]
	s_mov_b32 s27, s26
	s_mov_b32 s44, s26
	;; [unrolled: 1-line block ×3, first 2 shown]
	v_xor_b32_e32 v2, 0x80000000, v2
	v_xor_b32_e32 v3, 0x80000000, v3
	s_add_i32 s40, s37, s36
	v_lshlrev_b32_e32 v7, 2, v8
	v_cmp_gt_u32_e64 s[14:15], 4, v6
	v_cmp_lt_u32_e64 s[16:17], 63, v6
	v_cmp_eq_u32_e64 s[20:21], 0, v6
	v_mul_i32_i24_e32 v14, -12, v6
	v_add_u32_e32 v17, -4, v16
	v_mov_b64_e32 v[4:5], s[26:27]
	v_mov_b64_e32 v[10:11], s[44:45]
	v_mov_b32_e32 v13, 0
	v_add_u32_e32 v25, v18, v0
	v_add_u32_e32 v26, v19, v1
	;; [unrolled: 1-line block ×4, first 2 shown]
	s_branch .LBB16_19
.LBB16_18:                              ;   in Loop: Header=BB16_19 Depth=1
	s_andn2_b64 vcc, exec, s[26:27]
	s_mov_b32 s37, s41
	s_cbranch_vccz .LBB16_35
.LBB16_19:                              ; =>This Inner Loop Header: Depth=1
	v_mov_b32_e32 v33, v2
	s_min_u32 s26, s37, 8
	s_lshl_b32 s41, -1, s26
	v_lshrrev_b32_e32 v0, s36, v33
	v_bitop3_b32 v2, v0, s41, v0 bitop3:0x30
	v_mov_b32_e32 v31, v12
	v_and_b32_e32 v12, 1, v2
	v_lshl_add_u64 v[0:1], v[12:13], 0, -1
	v_cmp_ne_u32_e32 vcc, 0, v12
	v_mov_b32_e32 v30, v34
	v_mov_b32_e32 v32, v3
	v_xor_b32_e32 v1, vcc_hi, v1
	v_xor_b32_e32 v0, vcc_lo, v0
	v_and_b32_e32 v12, exec_hi, v1
	v_and_b32_e32 v34, exec_lo, v0
	v_lshlrev_b32_e32 v1, 30, v2
	v_mov_b32_e32 v0, v13
	v_cmp_gt_i64_e32 vcc, 0, v[0:1]
	v_not_b32_e32 v0, v1
	v_ashrrev_i32_e32 v0, 31, v0
	v_xor_b32_e32 v1, vcc_hi, v0
	v_xor_b32_e32 v0, vcc_lo, v0
	v_and_b32_e32 v12, v12, v1
	v_and_b32_e32 v34, v34, v0
	v_lshlrev_b32_e32 v1, 29, v2
	v_mov_b32_e32 v0, v13
	v_cmp_gt_i64_e32 vcc, 0, v[0:1]
	v_not_b32_e32 v0, v1
	v_ashrrev_i32_e32 v0, 31, v0
	v_xor_b32_e32 v1, vcc_hi, v0
	v_xor_b32_e32 v0, vcc_lo, v0
	v_and_b32_e32 v12, v12, v1
	v_and_b32_e32 v34, v34, v0
	;; [unrolled: 9-line block ×6, first 2 shown]
	v_lshlrev_b32_e32 v1, 24, v2
	v_mov_b32_e32 v0, v13
	v_cmp_gt_i64_e32 vcc, 0, v[0:1]
	v_not_b32_e32 v0, v1
	v_ashrrev_i32_e32 v0, 31, v0
	v_xor_b32_e32 v1, vcc_hi, v0
	v_xor_b32_e32 v0, vcc_lo, v0
	v_and_b32_e32 v0, v34, v0
	v_lshlrev_b32_e32 v3, 4, v2
	v_and_b32_e32 v1, v12, v1
	v_mbcnt_lo_u32_b32 v2, v0, 0
	v_mbcnt_hi_u32_b32 v34, v1, v2
	v_cmp_eq_u32_e32 vcc, 0, v34
	v_cmp_ne_u64_e64 s[26:27], 0, v[0:1]
	v_mov_b32_e32 v27, v41
	v_mov_b32_e32 v24, v42
	;; [unrolled: 1-line block ×4, first 2 shown]
	s_and_b64 s[44:45], s[26:27], vcc
	v_add_u32_e32 v35, v9, v3
	ds_write2_b64 v7, v[4:5], v[10:11] offset0:2 offset1:3
	s_waitcnt lgkmcnt(0)
	s_barrier
	; wave barrier
	s_and_saveexec_b64 s[26:27], s[44:45]
; %bb.20:                               ;   in Loop: Header=BB16_19 Depth=1
	v_bcnt_u32_b32 v0, v0, 0
	v_bcnt_u32_b32 v0, v1, v0
	ds_write_b32 v35, v0 offset:16
; %bb.21:                               ;   in Loop: Header=BB16_19 Depth=1
	s_or_b64 exec, exec, s[26:27]
	s_not_b32 s41, s41
	v_lshrrev_b32_e32 v0, s36, v32
	v_and_b32_e32 v2, s41, v0
	v_lshlrev_b32_e32 v0, 4, v2
	v_and_b32_e32 v12, 1, v2
	v_add_u32_e32 v37, v9, v0
	v_lshl_add_u64 v[0:1], v[12:13], 0, -1
	v_cmp_ne_u32_e32 vcc, 0, v12
	; wave barrier
	s_nop 1
	v_xor_b32_e32 v1, vcc_hi, v1
	v_xor_b32_e32 v0, vcc_lo, v0
	v_and_b32_e32 v3, exec_hi, v1
	v_and_b32_e32 v12, exec_lo, v0
	v_lshlrev_b32_e32 v1, 30, v2
	v_mov_b32_e32 v0, v13
	v_cmp_gt_i64_e32 vcc, 0, v[0:1]
	v_not_b32_e32 v0, v1
	v_ashrrev_i32_e32 v0, 31, v0
	v_xor_b32_e32 v1, vcc_hi, v0
	v_xor_b32_e32 v0, vcc_lo, v0
	v_and_b32_e32 v3, v3, v1
	v_and_b32_e32 v12, v12, v0
	v_lshlrev_b32_e32 v1, 29, v2
	v_mov_b32_e32 v0, v13
	v_cmp_gt_i64_e32 vcc, 0, v[0:1]
	v_not_b32_e32 v0, v1
	v_ashrrev_i32_e32 v0, 31, v0
	v_xor_b32_e32 v1, vcc_hi, v0
	v_xor_b32_e32 v0, vcc_lo, v0
	v_and_b32_e32 v3, v3, v1
	v_and_b32_e32 v12, v12, v0
	;; [unrolled: 9-line block ×6, first 2 shown]
	v_lshlrev_b32_e32 v1, 24, v2
	v_mov_b32_e32 v0, v13
	v_cmp_gt_i64_e32 vcc, 0, v[0:1]
	v_not_b32_e32 v0, v1
	v_ashrrev_i32_e32 v0, 31, v0
	v_xor_b32_e32 v1, vcc_hi, v0
	v_xor_b32_e32 v0, vcc_lo, v0
	ds_read_b32 v36, v37 offset:16
	v_and_b32_e32 v0, v12, v0
	v_and_b32_e32 v1, v3, v1
	v_mbcnt_lo_u32_b32 v2, v0, 0
	v_mbcnt_hi_u32_b32 v38, v1, v2
	v_cmp_eq_u32_e32 vcc, 0, v38
	v_cmp_ne_u64_e64 s[26:27], 0, v[0:1]
	s_and_b64 s[44:45], s[26:27], vcc
	; wave barrier
	s_and_saveexec_b64 s[26:27], s[44:45]
	s_cbranch_execz .LBB16_23
; %bb.22:                               ;   in Loop: Header=BB16_19 Depth=1
	v_bcnt_u32_b32 v0, v0, 0
	v_bcnt_u32_b32 v0, v1, v0
	s_waitcnt lgkmcnt(0)
	v_add_u32_e32 v0, v36, v0
	ds_write_b32 v37, v0 offset:16
.LBB16_23:                              ;   in Loop: Header=BB16_19 Depth=1
	s_or_b64 exec, exec, s[26:27]
	v_lshrrev_b32_e32 v0, s36, v31
	v_and_b32_e32 v2, s41, v0
	v_lshlrev_b32_e32 v0, 4, v2
	v_and_b32_e32 v12, 1, v2
	v_add_u32_e32 v40, v9, v0
	v_lshl_add_u64 v[0:1], v[12:13], 0, -1
	v_cmp_ne_u32_e32 vcc, 0, v12
	; wave barrier
	s_nop 1
	v_xor_b32_e32 v1, vcc_hi, v1
	v_xor_b32_e32 v0, vcc_lo, v0
	v_and_b32_e32 v3, exec_hi, v1
	v_and_b32_e32 v12, exec_lo, v0
	v_lshlrev_b32_e32 v1, 30, v2
	v_mov_b32_e32 v0, v13
	v_cmp_gt_i64_e32 vcc, 0, v[0:1]
	v_not_b32_e32 v0, v1
	v_ashrrev_i32_e32 v0, 31, v0
	v_xor_b32_e32 v1, vcc_hi, v0
	v_xor_b32_e32 v0, vcc_lo, v0
	v_and_b32_e32 v3, v3, v1
	v_and_b32_e32 v12, v12, v0
	v_lshlrev_b32_e32 v1, 29, v2
	v_mov_b32_e32 v0, v13
	v_cmp_gt_i64_e32 vcc, 0, v[0:1]
	v_not_b32_e32 v0, v1
	v_ashrrev_i32_e32 v0, 31, v0
	v_xor_b32_e32 v1, vcc_hi, v0
	v_xor_b32_e32 v0, vcc_lo, v0
	v_and_b32_e32 v3, v3, v1
	v_and_b32_e32 v12, v12, v0
	;; [unrolled: 9-line block ×6, first 2 shown]
	v_lshlrev_b32_e32 v1, 24, v2
	v_mov_b32_e32 v0, v13
	v_cmp_gt_i64_e32 vcc, 0, v[0:1]
	v_not_b32_e32 v0, v1
	v_ashrrev_i32_e32 v0, 31, v0
	v_xor_b32_e32 v1, vcc_hi, v0
	v_xor_b32_e32 v0, vcc_lo, v0
	ds_read_b32 v39, v40 offset:16
	v_and_b32_e32 v0, v12, v0
	v_and_b32_e32 v1, v3, v1
	v_mbcnt_lo_u32_b32 v2, v0, 0
	v_mbcnt_hi_u32_b32 v41, v1, v2
	v_cmp_eq_u32_e32 vcc, 0, v41
	v_cmp_ne_u64_e64 s[26:27], 0, v[0:1]
	s_and_b64 s[44:45], s[26:27], vcc
	; wave barrier
	s_and_saveexec_b64 s[26:27], s[44:45]
	s_cbranch_execz .LBB16_25
; %bb.24:                               ;   in Loop: Header=BB16_19 Depth=1
	v_bcnt_u32_b32 v0, v0, 0
	v_bcnt_u32_b32 v0, v1, v0
	s_waitcnt lgkmcnt(0)
	v_add_u32_e32 v0, v39, v0
	ds_write_b32 v40, v0 offset:16
.LBB16_25:                              ;   in Loop: Header=BB16_19 Depth=1
	s_or_b64 exec, exec, s[26:27]
	v_lshrrev_b32_e32 v0, s36, v30
	v_and_b32_e32 v2, s41, v0
	v_lshlrev_b32_e32 v0, 4, v2
	v_and_b32_e32 v12, 1, v2
	v_add_u32_e32 v43, v9, v0
	v_lshl_add_u64 v[0:1], v[12:13], 0, -1
	v_cmp_ne_u32_e32 vcc, 0, v12
	; wave barrier
	s_nop 1
	v_xor_b32_e32 v1, vcc_hi, v1
	v_xor_b32_e32 v0, vcc_lo, v0
	v_and_b32_e32 v3, exec_hi, v1
	v_and_b32_e32 v12, exec_lo, v0
	v_lshlrev_b32_e32 v1, 30, v2
	v_mov_b32_e32 v0, v13
	v_cmp_gt_i64_e32 vcc, 0, v[0:1]
	v_not_b32_e32 v0, v1
	v_ashrrev_i32_e32 v0, 31, v0
	v_xor_b32_e32 v1, vcc_hi, v0
	v_xor_b32_e32 v0, vcc_lo, v0
	v_and_b32_e32 v3, v3, v1
	v_and_b32_e32 v12, v12, v0
	v_lshlrev_b32_e32 v1, 29, v2
	v_mov_b32_e32 v0, v13
	v_cmp_gt_i64_e32 vcc, 0, v[0:1]
	v_not_b32_e32 v0, v1
	v_ashrrev_i32_e32 v0, 31, v0
	v_xor_b32_e32 v1, vcc_hi, v0
	v_xor_b32_e32 v0, vcc_lo, v0
	v_and_b32_e32 v3, v3, v1
	v_and_b32_e32 v12, v12, v0
	;; [unrolled: 9-line block ×6, first 2 shown]
	v_lshlrev_b32_e32 v1, 24, v2
	v_mov_b32_e32 v0, v13
	v_cmp_gt_i64_e32 vcc, 0, v[0:1]
	v_not_b32_e32 v0, v1
	v_ashrrev_i32_e32 v0, 31, v0
	v_xor_b32_e32 v1, vcc_hi, v0
	v_xor_b32_e32 v0, vcc_lo, v0
	ds_read_b32 v42, v43 offset:16
	v_and_b32_e32 v0, v12, v0
	v_and_b32_e32 v1, v3, v1
	v_mbcnt_lo_u32_b32 v2, v0, 0
	v_mbcnt_hi_u32_b32 v12, v1, v2
	v_cmp_eq_u32_e32 vcc, 0, v12
	v_cmp_ne_u64_e64 s[26:27], 0, v[0:1]
	s_and_b64 s[44:45], s[26:27], vcc
	; wave barrier
	s_and_saveexec_b64 s[26:27], s[44:45]
	s_cbranch_execz .LBB16_27
; %bb.26:                               ;   in Loop: Header=BB16_19 Depth=1
	v_bcnt_u32_b32 v0, v0, 0
	v_bcnt_u32_b32 v0, v1, v0
	s_waitcnt lgkmcnt(0)
	v_add_u32_e32 v0, v42, v0
	ds_write_b32 v43, v0 offset:16
.LBB16_27:                              ;   in Loop: Header=BB16_19 Depth=1
	s_or_b64 exec, exec, s[26:27]
	; wave barrier
	s_waitcnt lgkmcnt(0)
	s_barrier
	ds_read2_b64 v[0:3], v7 offset0:2 offset1:3
	s_waitcnt lgkmcnt(0)
	v_add_u32_e32 v44, v1, v0
	v_add3_u32 v3, v44, v2, v3
	s_nop 1
	v_mov_b32_dpp v44, v3 row_shr:1 row_mask:0xf bank_mask:0xf
	v_cndmask_b32_e64 v44, v44, 0, s[0:1]
	v_add_u32_e32 v3, v44, v3
	s_nop 1
	v_mov_b32_dpp v44, v3 row_shr:2 row_mask:0xf bank_mask:0xf
	v_cndmask_b32_e64 v44, 0, v44, s[2:3]
	v_add_u32_e32 v3, v3, v44
	;; [unrolled: 4-line block ×4, first 2 shown]
	s_nop 1
	v_mov_b32_dpp v44, v3 row_bcast:15 row_mask:0xf bank_mask:0xf
	v_cndmask_b32_e64 v44, v44, 0, s[8:9]
	v_add_u32_e32 v3, v3, v44
	s_nop 1
	v_mov_b32_dpp v44, v3 row_bcast:31 row_mask:0xf bank_mask:0xf
	v_cndmask_b32_e64 v44, 0, v44, s[10:11]
	v_add_u32_e32 v3, v3, v44
	s_and_saveexec_b64 s[26:27], s[12:13]
; %bb.28:                               ;   in Loop: Header=BB16_19 Depth=1
	ds_write_b32 v16, v3
; %bb.29:                               ;   in Loop: Header=BB16_19 Depth=1
	s_or_b64 exec, exec, s[26:27]
	s_waitcnt lgkmcnt(0)
	s_barrier
	s_and_saveexec_b64 s[26:27], s[14:15]
	s_cbranch_execz .LBB16_31
; %bb.30:                               ;   in Loop: Header=BB16_19 Depth=1
	v_add_u32_e32 v44, v7, v14
	ds_read_b32 v45, v44
	s_waitcnt lgkmcnt(0)
	s_nop 0
	v_mov_b32_dpp v46, v45 row_shr:1 row_mask:0xf bank_mask:0xf
	v_cndmask_b32_e64 v46, v46, 0, s[22:23]
	v_add_u32_e32 v45, v46, v45
	s_nop 1
	v_mov_b32_dpp v46, v45 row_shr:2 row_mask:0xf bank_mask:0xf
	v_cndmask_b32_e64 v46, 0, v46, s[24:25]
	v_add_u32_e32 v45, v45, v46
	ds_write_b32 v44, v45
.LBB16_31:                              ;   in Loop: Header=BB16_19 Depth=1
	s_or_b64 exec, exec, s[26:27]
	v_mov_b32_e32 v44, 0
	s_waitcnt lgkmcnt(0)
	s_barrier
	s_and_saveexec_b64 s[26:27], s[16:17]
; %bb.32:                               ;   in Loop: Header=BB16_19 Depth=1
	ds_read_b32 v44, v17
; %bb.33:                               ;   in Loop: Header=BB16_19 Depth=1
	s_or_b64 exec, exec, s[26:27]
	s_waitcnt lgkmcnt(0)
	v_add_u32_e32 v3, v44, v3
	ds_bpermute_b32 v3, v15, v3
	s_add_i32 s36, s36, 8
	s_cmp_ge_u32 s36, s40
	s_mov_b64 s[26:27], -1
	s_waitcnt lgkmcnt(0)
	v_cndmask_b32_e64 v3, v3, v44, s[18:19]
	v_cndmask_b32_e64 v44, v3, 0, s[20:21]
	v_add_u32_e32 v45, v44, v0
	v_add_u32_e32 v0, v45, v1
	;; [unrolled: 1-line block ×3, first 2 shown]
	ds_write2_b64 v7, v[44:45], v[0:1] offset0:2 offset1:3
	s_waitcnt lgkmcnt(0)
	s_barrier
	ds_read_b32 v0, v35 offset:16
	ds_read_b32 v1, v37 offset:16
	;; [unrolled: 1-line block ×4, first 2 shown]
	s_waitcnt lgkmcnt(0)
	v_add_u32_e32 v37, v0, v34
	v_add3_u32 v35, v38, v36, v1
	v_add3_u32 v1, v41, v39, v2
	;; [unrolled: 1-line block ×3, first 2 shown]
	v_lshlrev_b32_e32 v40, 2, v37
	v_lshlrev_b32_e32 v39, 2, v35
	;; [unrolled: 1-line block ×4, first 2 shown]
	v_readfirstlane_b32 s41, v0
                                        ; implicit-def: $vgpr34
                                        ; implicit-def: $vgpr12
                                        ; implicit-def: $vgpr3
                                        ; implicit-def: $vgpr2
                                        ; implicit-def: $vgpr41
                                        ; implicit-def: $vgpr42
                                        ; implicit-def: $vgpr43
                                        ; implicit-def: $vgpr44
	s_cbranch_scc1 .LBB16_18
; %bb.34:                               ;   in Loop: Header=BB16_19 Depth=1
	v_lshlrev_b32_e32 v41, 1, v37
	v_sub_u32_e32 v41, v40, v41
	s_barrier
	ds_write_b32 v40, v33
	ds_write_b32 v39, v32
	ds_write_b32 v38, v31
	ds_write_b32 v36, v30
	s_waitcnt lgkmcnt(0)
	s_barrier
	ds_read_b32 v2, v18
	ds_read_b32 v3, v19
	;; [unrolled: 1-line block ×4, first 2 shown]
	s_waitcnt lgkmcnt(0)
	s_barrier
	ds_write_b16 v41, v27
	v_lshlrev_b32_e32 v41, 1, v35
	v_sub_u32_e32 v41, v39, v41
	ds_write_b16 v41, v24
	v_lshlrev_b32_e32 v41, 1, v1
	v_sub_u32_e32 v41, v38, v41
	;; [unrolled: 3-line block ×3, first 2 shown]
	ds_write_b16 v41, v22
	s_waitcnt lgkmcnt(0)
	s_barrier
	ds_read_u16 v41, v25
	ds_read_u16 v42, v26
	;; [unrolled: 1-line block ×4, first 2 shown]
	s_add_i32 s41, s37, -8
	s_mov_b64 s[26:27], 0
	s_waitcnt lgkmcnt(0)
	s_barrier
	s_branch .LBB16_18
.LBB16_35:
	v_add_u32_e32 v4, v7, v14
	s_barrier
	ds_write_b32 v40, v33
	ds_write_b32 v39, v32
	;; [unrolled: 1-line block ×4, first 2 shown]
	s_waitcnt lgkmcnt(0)
	s_barrier
	ds_read2st64_b32 v[2:3], v4 offset1:4
	ds_read2st64_b32 v[14:15], v4 offset0:8 offset1:12
	v_lshlrev_b32_e32 v4, 1, v37
	v_sub_u32_e32 v4, v40, v4
	s_waitcnt lgkmcnt(0)
	s_barrier
	ds_write_b16 v4, v27
	v_lshlrev_b32_e32 v4, 1, v35
	v_lshlrev_b32_e32 v1, 1, v1
	;; [unrolled: 1-line block ×3, first 2 shown]
	v_sub_u32_e32 v4, v39, v4
	v_sub_u32_e32 v1, v38, v1
	;; [unrolled: 1-line block ×3, first 2 shown]
	ds_write_b16 v4, v24
	ds_write_b16 v1, v23
	;; [unrolled: 1-line block ×3, first 2 shown]
	v_lshlrev_b32_e32 v0, 1, v6
	s_waitcnt lgkmcnt(0)
	s_barrier
	ds_read_u16 v10, v0
	ds_read_u16 v7, v0 offset:512
	ds_read_u16 v5, v0 offset:1024
	;; [unrolled: 1-line block ×3, first 2 shown]
	s_add_u32 s0, s38, s34
	s_addc_u32 s1, s39, s35
	v_mov_b32_e32 v9, 0
	v_xor_b32_e32 v13, 0x80000000, v2
	v_xor_b32_e32 v12, 0x80000000, v3
	;; [unrolled: 1-line block ×4, first 2 shown]
	s_andn2_b64 vcc, exec, s[30:31]
	v_lshl_add_u64 v[2:3], s[0:1], 0, v[8:9]
	s_cbranch_vccnz .LBB16_37
; %bb.36:
	s_lshl_b64 s[0:1], s[28:29], 1
	s_add_u32 s0, s42, s0
	s_addc_u32 s1, s43, s1
	global_store_dword v[2:3], v13, off
	global_store_dword v[2:3], v12, off offset:1024
	global_store_dword v[2:3], v11, off offset:2048
	;; [unrolled: 1-line block ×3, first 2 shown]
	s_waitcnt lgkmcnt(3)
	global_store_short v0, v10, s[0:1]
	s_waitcnt lgkmcnt(2)
	global_store_short v0, v7, s[0:1] offset:512
	s_waitcnt lgkmcnt(1)
	global_store_short v0, v5, s[0:1] offset:1024
	s_mov_b64 s[4:5], -1
	s_cbranch_execz .LBB16_38
	s_branch .LBB16_51
.LBB16_37:
	s_mov_b64 s[4:5], 0
.LBB16_38:
	v_cmp_gt_u32_e32 vcc, s33, v6
	s_and_saveexec_b64 s[0:1], vcc
	s_cbranch_execz .LBB16_40
; %bb.39:
	global_store_dword v[2:3], v13, off
.LBB16_40:
	s_or_b64 exec, exec, s[0:1]
	v_add_u32_e32 v8, 0x100, v6
	v_cmp_gt_u32_e64 s[0:1], s33, v8
	s_and_saveexec_b64 s[2:3], s[0:1]
	s_cbranch_execz .LBB16_42
; %bb.41:
	global_store_dword v[2:3], v12, off offset:1024
.LBB16_42:
	s_or_b64 exec, exec, s[2:3]
	v_add_u32_e32 v8, 0x200, v6
	v_cmp_gt_u32_e64 s[2:3], s33, v8
	s_and_saveexec_b64 s[4:5], s[2:3]
	s_cbranch_execz .LBB16_44
; %bb.43:
	global_store_dword v[2:3], v11, off offset:2048
.LBB16_44:
	;; [unrolled: 8-line block ×3, first 2 shown]
	s_or_b64 exec, exec, s[6:7]
	s_lshl_b64 s[6:7], s[28:29], 1
	s_add_u32 s6, s42, s6
	s_addc_u32 s7, s43, s7
	v_mov_b32_e32 v1, 0
	v_lshl_add_u64 v[2:3], s[6:7], 0, v[0:1]
	s_and_saveexec_b64 s[6:7], vcc
	s_cbranch_execnz .LBB16_57
; %bb.47:
	s_or_b64 exec, exec, s[6:7]
	s_and_saveexec_b64 s[6:7], s[0:1]
	s_cbranch_execnz .LBB16_58
.LBB16_48:
	s_or_b64 exec, exec, s[6:7]
	s_and_saveexec_b64 s[0:1], s[2:3]
	s_cbranch_execz .LBB16_50
.LBB16_49:
	s_waitcnt lgkmcnt(1)
	global_store_short v[2:3], v5, off offset:1024
.LBB16_50:
	s_or_b64 exec, exec, s[0:1]
.LBB16_51:
	s_and_saveexec_b64 s[0:1], s[4:5]
	s_cbranch_execnz .LBB16_53
; %bb.52:
	s_endpgm
.LBB16_53:
	s_lshl_b64 s[0:1], s[28:29], 1
	s_add_u32 s0, s42, s0
	s_addc_u32 s1, s43, s1
	s_waitcnt lgkmcnt(0)
	global_store_short v0, v4, s[0:1] offset:1536
	s_endpgm
.LBB16_54:
	global_load_ushort v41, v[10:11], off
	s_or_b64 exec, exec, s[8:9]
                                        ; implicit-def: $vgpr42
	s_and_saveexec_b64 s[8:9], s[2:3]
	s_cbranch_execz .LBB16_13
.LBB16_55:
	global_load_ushort v42, v[10:11], off offset:128
	s_or_b64 exec, exec, s[8:9]
                                        ; implicit-def: $vgpr43
	s_and_saveexec_b64 s[2:3], s[4:5]
	s_cbranch_execz .LBB16_14
.LBB16_56:
	global_load_ushort v43, v[10:11], off offset:256
	s_or_b64 exec, exec, s[2:3]
                                        ; implicit-def: $vgpr44
	s_and_saveexec_b64 s[2:3], s[6:7]
	s_cbranch_execnz .LBB16_15
	s_branch .LBB16_16
.LBB16_57:
	s_waitcnt lgkmcnt(3)
	global_store_short v[2:3], v10, off
	s_or_b64 exec, exec, s[6:7]
	s_and_saveexec_b64 s[6:7], s[0:1]
	s_cbranch_execz .LBB16_48
.LBB16_58:
	s_waitcnt lgkmcnt(2)
	global_store_short v[2:3], v7, off offset:512
	s_or_b64 exec, exec, s[6:7]
	s_and_saveexec_b64 s[0:1], s[2:3]
	s_cbranch_execnz .LBB16_49
	s_branch .LBB16_50
	.section	.rodata,"a",@progbits
	.p2align	6, 0x0
	.amdhsa_kernel _ZN7rocprim17ROCPRIM_304000_NS6detail28radix_sort_block_sort_kernelINS1_36wrapped_radix_sort_block_sort_configINS0_13kernel_configILj256ELj4ELj4294967295EEEiN2at4cuda3cub6detail10OpaqueTypeILi2EEEEELb0EPKiPiPKSB_PSB_NS0_19identity_decomposerEEEvT1_T2_T3_T4_jT5_jj
		.amdhsa_group_segment_fixed_size 4112
		.amdhsa_private_segment_fixed_size 0
		.amdhsa_kernarg_size 304
		.amdhsa_user_sgpr_count 2
		.amdhsa_user_sgpr_dispatch_ptr 0
		.amdhsa_user_sgpr_queue_ptr 0
		.amdhsa_user_sgpr_kernarg_segment_ptr 1
		.amdhsa_user_sgpr_dispatch_id 0
		.amdhsa_user_sgpr_kernarg_preload_length 0
		.amdhsa_user_sgpr_kernarg_preload_offset 0
		.amdhsa_user_sgpr_private_segment_size 0
		.amdhsa_uses_dynamic_stack 0
		.amdhsa_enable_private_segment 0
		.amdhsa_system_sgpr_workgroup_id_x 1
		.amdhsa_system_sgpr_workgroup_id_y 0
		.amdhsa_system_sgpr_workgroup_id_z 0
		.amdhsa_system_sgpr_workgroup_info 0
		.amdhsa_system_vgpr_workitem_id 2
		.amdhsa_next_free_vgpr 47
		.amdhsa_next_free_sgpr 46
		.amdhsa_accum_offset 48
		.amdhsa_reserve_vcc 1
		.amdhsa_float_round_mode_32 0
		.amdhsa_float_round_mode_16_64 0
		.amdhsa_float_denorm_mode_32 3
		.amdhsa_float_denorm_mode_16_64 3
		.amdhsa_dx10_clamp 1
		.amdhsa_ieee_mode 1
		.amdhsa_fp16_overflow 0
		.amdhsa_tg_split 0
		.amdhsa_exception_fp_ieee_invalid_op 0
		.amdhsa_exception_fp_denorm_src 0
		.amdhsa_exception_fp_ieee_div_zero 0
		.amdhsa_exception_fp_ieee_overflow 0
		.amdhsa_exception_fp_ieee_underflow 0
		.amdhsa_exception_fp_ieee_inexact 0
		.amdhsa_exception_int_div_zero 0
	.end_amdhsa_kernel
	.section	.text._ZN7rocprim17ROCPRIM_304000_NS6detail28radix_sort_block_sort_kernelINS1_36wrapped_radix_sort_block_sort_configINS0_13kernel_configILj256ELj4ELj4294967295EEEiN2at4cuda3cub6detail10OpaqueTypeILi2EEEEELb0EPKiPiPKSB_PSB_NS0_19identity_decomposerEEEvT1_T2_T3_T4_jT5_jj,"axG",@progbits,_ZN7rocprim17ROCPRIM_304000_NS6detail28radix_sort_block_sort_kernelINS1_36wrapped_radix_sort_block_sort_configINS0_13kernel_configILj256ELj4ELj4294967295EEEiN2at4cuda3cub6detail10OpaqueTypeILi2EEEEELb0EPKiPiPKSB_PSB_NS0_19identity_decomposerEEEvT1_T2_T3_T4_jT5_jj,comdat
.Lfunc_end16:
	.size	_ZN7rocprim17ROCPRIM_304000_NS6detail28radix_sort_block_sort_kernelINS1_36wrapped_radix_sort_block_sort_configINS0_13kernel_configILj256ELj4ELj4294967295EEEiN2at4cuda3cub6detail10OpaqueTypeILi2EEEEELb0EPKiPiPKSB_PSB_NS0_19identity_decomposerEEEvT1_T2_T3_T4_jT5_jj, .Lfunc_end16-_ZN7rocprim17ROCPRIM_304000_NS6detail28radix_sort_block_sort_kernelINS1_36wrapped_radix_sort_block_sort_configINS0_13kernel_configILj256ELj4ELj4294967295EEEiN2at4cuda3cub6detail10OpaqueTypeILi2EEEEELb0EPKiPiPKSB_PSB_NS0_19identity_decomposerEEEvT1_T2_T3_T4_jT5_jj
                                        ; -- End function
	.set _ZN7rocprim17ROCPRIM_304000_NS6detail28radix_sort_block_sort_kernelINS1_36wrapped_radix_sort_block_sort_configINS0_13kernel_configILj256ELj4ELj4294967295EEEiN2at4cuda3cub6detail10OpaqueTypeILi2EEEEELb0EPKiPiPKSB_PSB_NS0_19identity_decomposerEEEvT1_T2_T3_T4_jT5_jj.num_vgpr, 47
	.set _ZN7rocprim17ROCPRIM_304000_NS6detail28radix_sort_block_sort_kernelINS1_36wrapped_radix_sort_block_sort_configINS0_13kernel_configILj256ELj4ELj4294967295EEEiN2at4cuda3cub6detail10OpaqueTypeILi2EEEEELb0EPKiPiPKSB_PSB_NS0_19identity_decomposerEEEvT1_T2_T3_T4_jT5_jj.num_agpr, 0
	.set _ZN7rocprim17ROCPRIM_304000_NS6detail28radix_sort_block_sort_kernelINS1_36wrapped_radix_sort_block_sort_configINS0_13kernel_configILj256ELj4ELj4294967295EEEiN2at4cuda3cub6detail10OpaqueTypeILi2EEEEELb0EPKiPiPKSB_PSB_NS0_19identity_decomposerEEEvT1_T2_T3_T4_jT5_jj.numbered_sgpr, 46
	.set _ZN7rocprim17ROCPRIM_304000_NS6detail28radix_sort_block_sort_kernelINS1_36wrapped_radix_sort_block_sort_configINS0_13kernel_configILj256ELj4ELj4294967295EEEiN2at4cuda3cub6detail10OpaqueTypeILi2EEEEELb0EPKiPiPKSB_PSB_NS0_19identity_decomposerEEEvT1_T2_T3_T4_jT5_jj.num_named_barrier, 0
	.set _ZN7rocprim17ROCPRIM_304000_NS6detail28radix_sort_block_sort_kernelINS1_36wrapped_radix_sort_block_sort_configINS0_13kernel_configILj256ELj4ELj4294967295EEEiN2at4cuda3cub6detail10OpaqueTypeILi2EEEEELb0EPKiPiPKSB_PSB_NS0_19identity_decomposerEEEvT1_T2_T3_T4_jT5_jj.private_seg_size, 0
	.set _ZN7rocprim17ROCPRIM_304000_NS6detail28radix_sort_block_sort_kernelINS1_36wrapped_radix_sort_block_sort_configINS0_13kernel_configILj256ELj4ELj4294967295EEEiN2at4cuda3cub6detail10OpaqueTypeILi2EEEEELb0EPKiPiPKSB_PSB_NS0_19identity_decomposerEEEvT1_T2_T3_T4_jT5_jj.uses_vcc, 1
	.set _ZN7rocprim17ROCPRIM_304000_NS6detail28radix_sort_block_sort_kernelINS1_36wrapped_radix_sort_block_sort_configINS0_13kernel_configILj256ELj4ELj4294967295EEEiN2at4cuda3cub6detail10OpaqueTypeILi2EEEEELb0EPKiPiPKSB_PSB_NS0_19identity_decomposerEEEvT1_T2_T3_T4_jT5_jj.uses_flat_scratch, 0
	.set _ZN7rocprim17ROCPRIM_304000_NS6detail28radix_sort_block_sort_kernelINS1_36wrapped_radix_sort_block_sort_configINS0_13kernel_configILj256ELj4ELj4294967295EEEiN2at4cuda3cub6detail10OpaqueTypeILi2EEEEELb0EPKiPiPKSB_PSB_NS0_19identity_decomposerEEEvT1_T2_T3_T4_jT5_jj.has_dyn_sized_stack, 0
	.set _ZN7rocprim17ROCPRIM_304000_NS6detail28radix_sort_block_sort_kernelINS1_36wrapped_radix_sort_block_sort_configINS0_13kernel_configILj256ELj4ELj4294967295EEEiN2at4cuda3cub6detail10OpaqueTypeILi2EEEEELb0EPKiPiPKSB_PSB_NS0_19identity_decomposerEEEvT1_T2_T3_T4_jT5_jj.has_recursion, 0
	.set _ZN7rocprim17ROCPRIM_304000_NS6detail28radix_sort_block_sort_kernelINS1_36wrapped_radix_sort_block_sort_configINS0_13kernel_configILj256ELj4ELj4294967295EEEiN2at4cuda3cub6detail10OpaqueTypeILi2EEEEELb0EPKiPiPKSB_PSB_NS0_19identity_decomposerEEEvT1_T2_T3_T4_jT5_jj.has_indirect_call, 0
	.section	.AMDGPU.csdata,"",@progbits
; Kernel info:
; codeLenInByte = 3920
; TotalNumSgprs: 52
; NumVgprs: 47
; NumAgprs: 0
; TotalNumVgprs: 47
; ScratchSize: 0
; MemoryBound: 0
; FloatMode: 240
; IeeeMode: 1
; LDSByteSize: 4112 bytes/workgroup (compile time only)
; SGPRBlocks: 6
; VGPRBlocks: 5
; NumSGPRsForWavesPerEU: 52
; NumVGPRsForWavesPerEU: 47
; AccumOffset: 48
; Occupancy: 8
; WaveLimiterHint : 1
; COMPUTE_PGM_RSRC2:SCRATCH_EN: 0
; COMPUTE_PGM_RSRC2:USER_SGPR: 2
; COMPUTE_PGM_RSRC2:TRAP_HANDLER: 0
; COMPUTE_PGM_RSRC2:TGID_X_EN: 1
; COMPUTE_PGM_RSRC2:TGID_Y_EN: 0
; COMPUTE_PGM_RSRC2:TGID_Z_EN: 0
; COMPUTE_PGM_RSRC2:TIDIG_COMP_CNT: 2
; COMPUTE_PGM_RSRC3_GFX90A:ACCUM_OFFSET: 11
; COMPUTE_PGM_RSRC3_GFX90A:TG_SPLIT: 0
	.section	.text._ZN7rocprim17ROCPRIM_304000_NS6detail45device_block_merge_mergepath_partition_kernelINS1_37wrapped_merge_sort_block_merge_configINS0_14default_configEiN2at4cuda3cub6detail10OpaqueTypeILi2EEEEEPijNS1_19radix_merge_compareILb0ELb0EiNS0_19identity_decomposerEEEEEvT0_T1_jPSH_T2_SH_,"axG",@progbits,_ZN7rocprim17ROCPRIM_304000_NS6detail45device_block_merge_mergepath_partition_kernelINS1_37wrapped_merge_sort_block_merge_configINS0_14default_configEiN2at4cuda3cub6detail10OpaqueTypeILi2EEEEEPijNS1_19radix_merge_compareILb0ELb0EiNS0_19identity_decomposerEEEEEvT0_T1_jPSH_T2_SH_,comdat
	.protected	_ZN7rocprim17ROCPRIM_304000_NS6detail45device_block_merge_mergepath_partition_kernelINS1_37wrapped_merge_sort_block_merge_configINS0_14default_configEiN2at4cuda3cub6detail10OpaqueTypeILi2EEEEEPijNS1_19radix_merge_compareILb0ELb0EiNS0_19identity_decomposerEEEEEvT0_T1_jPSH_T2_SH_ ; -- Begin function _ZN7rocprim17ROCPRIM_304000_NS6detail45device_block_merge_mergepath_partition_kernelINS1_37wrapped_merge_sort_block_merge_configINS0_14default_configEiN2at4cuda3cub6detail10OpaqueTypeILi2EEEEEPijNS1_19radix_merge_compareILb0ELb0EiNS0_19identity_decomposerEEEEEvT0_T1_jPSH_T2_SH_
	.globl	_ZN7rocprim17ROCPRIM_304000_NS6detail45device_block_merge_mergepath_partition_kernelINS1_37wrapped_merge_sort_block_merge_configINS0_14default_configEiN2at4cuda3cub6detail10OpaqueTypeILi2EEEEEPijNS1_19radix_merge_compareILb0ELb0EiNS0_19identity_decomposerEEEEEvT0_T1_jPSH_T2_SH_
	.p2align	8
	.type	_ZN7rocprim17ROCPRIM_304000_NS6detail45device_block_merge_mergepath_partition_kernelINS1_37wrapped_merge_sort_block_merge_configINS0_14default_configEiN2at4cuda3cub6detail10OpaqueTypeILi2EEEEEPijNS1_19radix_merge_compareILb0ELb0EiNS0_19identity_decomposerEEEEEvT0_T1_jPSH_T2_SH_,@function
_ZN7rocprim17ROCPRIM_304000_NS6detail45device_block_merge_mergepath_partition_kernelINS1_37wrapped_merge_sort_block_merge_configINS0_14default_configEiN2at4cuda3cub6detail10OpaqueTypeILi2EEEEEPijNS1_19radix_merge_compareILb0ELb0EiNS0_19identity_decomposerEEEEEvT0_T1_jPSH_T2_SH_: ; @_ZN7rocprim17ROCPRIM_304000_NS6detail45device_block_merge_mergepath_partition_kernelINS1_37wrapped_merge_sort_block_merge_configINS0_14default_configEiN2at4cuda3cub6detail10OpaqueTypeILi2EEEEEPijNS1_19radix_merge_compareILb0ELb0EiNS0_19identity_decomposerEEEEEvT0_T1_jPSH_T2_SH_
; %bb.0:
	s_load_dwordx2 s[4:5], s[0:1], 0x8
	v_lshl_or_b32 v0, s2, 7, v0
	s_waitcnt lgkmcnt(0)
	v_cmp_gt_u32_e32 vcc, s5, v0
	s_and_saveexec_b64 s[2:3], vcc
	s_cbranch_execz .LBB17_6
; %bb.1:
	s_load_dword s2, s[0:1], 0x1c
	s_waitcnt lgkmcnt(0)
	s_lshr_b32 s3, s2, 9
	s_and_b32 s3, s3, 0x7ffffe
	s_add_i32 s5, s3, -1
	s_sub_i32 s3, 0, s3
	v_and_b32_e32 v1, s3, v0
	v_and_b32_e32 v2, s5, v0
	v_lshlrev_b32_e32 v1, 10, v1
	v_lshlrev_b32_e32 v3, 10, v2
	v_min_u32_e32 v2, s4, v1
	v_add_u32_e32 v1, s2, v1
	v_min_u32_e32 v4, s4, v1
	v_add_u32_e32 v1, s2, v4
	v_min_u32_e32 v1, s4, v1
	v_sub_u32_e32 v5, v1, v2
	v_min_u32_e32 v10, v5, v3
	v_sub_u32_e32 v3, v4, v2
	v_sub_u32_e32 v1, v1, v4
	v_sub_u32_e64 v1, v10, v1 clamp
	v_min_u32_e32 v11, v10, v3
	v_cmp_lt_u32_e32 vcc, v1, v11
	s_and_saveexec_b64 s[2:3], vcc
	s_cbranch_execz .LBB17_5
; %bb.2:
	s_load_dwordx2 s[4:5], s[0:1], 0x0
	v_mov_b32_e32 v5, 0
	v_mov_b32_e32 v3, v5
	s_waitcnt lgkmcnt(0)
	v_lshl_add_u64 v[6:7], v[2:3], 2, s[4:5]
	v_lshl_add_u64 v[8:9], v[4:5], 2, s[4:5]
	s_mov_b64 s[4:5], 0
.LBB17_3:                               ; =>This Inner Loop Header: Depth=1
	v_add_u32_e32 v3, v11, v1
	v_lshrrev_b32_e32 v4, 1, v3
	v_mov_b32_e32 v13, v5
	v_xad_u32 v12, v4, -1, v10
	v_lshl_add_u64 v[14:15], v[4:5], 2, v[6:7]
	v_lshl_add_u64 v[12:13], v[12:13], 2, v[8:9]
	global_load_dword v3, v[14:15], off
	global_load_dword v16, v[12:13], off
	v_add_u32_e32 v12, 1, v4
	s_waitcnt vmcnt(0)
	v_cmp_gt_i32_e32 vcc, v3, v16
	s_nop 1
	v_cndmask_b32_e32 v11, v11, v4, vcc
	v_cndmask_b32_e32 v1, v12, v1, vcc
	v_cmp_ge_u32_e32 vcc, v1, v11
	s_or_b64 s[4:5], vcc, s[4:5]
	s_andn2_b64 exec, exec, s[4:5]
	s_cbranch_execnz .LBB17_3
; %bb.4:
	s_or_b64 exec, exec, s[4:5]
.LBB17_5:
	s_or_b64 exec, exec, s[2:3]
	s_load_dwordx2 s[0:1], s[0:1], 0x10
	v_add_u32_e32 v2, v1, v2
	v_mov_b32_e32 v1, 0
	s_waitcnt lgkmcnt(0)
	v_lshl_add_u64 v[0:1], v[0:1], 2, s[0:1]
	global_store_dword v[0:1], v2, off
.LBB17_6:
	s_endpgm
	.section	.rodata,"a",@progbits
	.p2align	6, 0x0
	.amdhsa_kernel _ZN7rocprim17ROCPRIM_304000_NS6detail45device_block_merge_mergepath_partition_kernelINS1_37wrapped_merge_sort_block_merge_configINS0_14default_configEiN2at4cuda3cub6detail10OpaqueTypeILi2EEEEEPijNS1_19radix_merge_compareILb0ELb0EiNS0_19identity_decomposerEEEEEvT0_T1_jPSH_T2_SH_
		.amdhsa_group_segment_fixed_size 0
		.amdhsa_private_segment_fixed_size 0
		.amdhsa_kernarg_size 32
		.amdhsa_user_sgpr_count 2
		.amdhsa_user_sgpr_dispatch_ptr 0
		.amdhsa_user_sgpr_queue_ptr 0
		.amdhsa_user_sgpr_kernarg_segment_ptr 1
		.amdhsa_user_sgpr_dispatch_id 0
		.amdhsa_user_sgpr_kernarg_preload_length 0
		.amdhsa_user_sgpr_kernarg_preload_offset 0
		.amdhsa_user_sgpr_private_segment_size 0
		.amdhsa_uses_dynamic_stack 0
		.amdhsa_enable_private_segment 0
		.amdhsa_system_sgpr_workgroup_id_x 1
		.amdhsa_system_sgpr_workgroup_id_y 0
		.amdhsa_system_sgpr_workgroup_id_z 0
		.amdhsa_system_sgpr_workgroup_info 0
		.amdhsa_system_vgpr_workitem_id 0
		.amdhsa_next_free_vgpr 17
		.amdhsa_next_free_sgpr 6
		.amdhsa_accum_offset 20
		.amdhsa_reserve_vcc 1
		.amdhsa_float_round_mode_32 0
		.amdhsa_float_round_mode_16_64 0
		.amdhsa_float_denorm_mode_32 3
		.amdhsa_float_denorm_mode_16_64 3
		.amdhsa_dx10_clamp 1
		.amdhsa_ieee_mode 1
		.amdhsa_fp16_overflow 0
		.amdhsa_tg_split 0
		.amdhsa_exception_fp_ieee_invalid_op 0
		.amdhsa_exception_fp_denorm_src 0
		.amdhsa_exception_fp_ieee_div_zero 0
		.amdhsa_exception_fp_ieee_overflow 0
		.amdhsa_exception_fp_ieee_underflow 0
		.amdhsa_exception_fp_ieee_inexact 0
		.amdhsa_exception_int_div_zero 0
	.end_amdhsa_kernel
	.section	.text._ZN7rocprim17ROCPRIM_304000_NS6detail45device_block_merge_mergepath_partition_kernelINS1_37wrapped_merge_sort_block_merge_configINS0_14default_configEiN2at4cuda3cub6detail10OpaqueTypeILi2EEEEEPijNS1_19radix_merge_compareILb0ELb0EiNS0_19identity_decomposerEEEEEvT0_T1_jPSH_T2_SH_,"axG",@progbits,_ZN7rocprim17ROCPRIM_304000_NS6detail45device_block_merge_mergepath_partition_kernelINS1_37wrapped_merge_sort_block_merge_configINS0_14default_configEiN2at4cuda3cub6detail10OpaqueTypeILi2EEEEEPijNS1_19radix_merge_compareILb0ELb0EiNS0_19identity_decomposerEEEEEvT0_T1_jPSH_T2_SH_,comdat
.Lfunc_end17:
	.size	_ZN7rocprim17ROCPRIM_304000_NS6detail45device_block_merge_mergepath_partition_kernelINS1_37wrapped_merge_sort_block_merge_configINS0_14default_configEiN2at4cuda3cub6detail10OpaqueTypeILi2EEEEEPijNS1_19radix_merge_compareILb0ELb0EiNS0_19identity_decomposerEEEEEvT0_T1_jPSH_T2_SH_, .Lfunc_end17-_ZN7rocprim17ROCPRIM_304000_NS6detail45device_block_merge_mergepath_partition_kernelINS1_37wrapped_merge_sort_block_merge_configINS0_14default_configEiN2at4cuda3cub6detail10OpaqueTypeILi2EEEEEPijNS1_19radix_merge_compareILb0ELb0EiNS0_19identity_decomposerEEEEEvT0_T1_jPSH_T2_SH_
                                        ; -- End function
	.set _ZN7rocprim17ROCPRIM_304000_NS6detail45device_block_merge_mergepath_partition_kernelINS1_37wrapped_merge_sort_block_merge_configINS0_14default_configEiN2at4cuda3cub6detail10OpaqueTypeILi2EEEEEPijNS1_19radix_merge_compareILb0ELb0EiNS0_19identity_decomposerEEEEEvT0_T1_jPSH_T2_SH_.num_vgpr, 17
	.set _ZN7rocprim17ROCPRIM_304000_NS6detail45device_block_merge_mergepath_partition_kernelINS1_37wrapped_merge_sort_block_merge_configINS0_14default_configEiN2at4cuda3cub6detail10OpaqueTypeILi2EEEEEPijNS1_19radix_merge_compareILb0ELb0EiNS0_19identity_decomposerEEEEEvT0_T1_jPSH_T2_SH_.num_agpr, 0
	.set _ZN7rocprim17ROCPRIM_304000_NS6detail45device_block_merge_mergepath_partition_kernelINS1_37wrapped_merge_sort_block_merge_configINS0_14default_configEiN2at4cuda3cub6detail10OpaqueTypeILi2EEEEEPijNS1_19radix_merge_compareILb0ELb0EiNS0_19identity_decomposerEEEEEvT0_T1_jPSH_T2_SH_.numbered_sgpr, 6
	.set _ZN7rocprim17ROCPRIM_304000_NS6detail45device_block_merge_mergepath_partition_kernelINS1_37wrapped_merge_sort_block_merge_configINS0_14default_configEiN2at4cuda3cub6detail10OpaqueTypeILi2EEEEEPijNS1_19radix_merge_compareILb0ELb0EiNS0_19identity_decomposerEEEEEvT0_T1_jPSH_T2_SH_.num_named_barrier, 0
	.set _ZN7rocprim17ROCPRIM_304000_NS6detail45device_block_merge_mergepath_partition_kernelINS1_37wrapped_merge_sort_block_merge_configINS0_14default_configEiN2at4cuda3cub6detail10OpaqueTypeILi2EEEEEPijNS1_19radix_merge_compareILb0ELb0EiNS0_19identity_decomposerEEEEEvT0_T1_jPSH_T2_SH_.private_seg_size, 0
	.set _ZN7rocprim17ROCPRIM_304000_NS6detail45device_block_merge_mergepath_partition_kernelINS1_37wrapped_merge_sort_block_merge_configINS0_14default_configEiN2at4cuda3cub6detail10OpaqueTypeILi2EEEEEPijNS1_19radix_merge_compareILb0ELb0EiNS0_19identity_decomposerEEEEEvT0_T1_jPSH_T2_SH_.uses_vcc, 1
	.set _ZN7rocprim17ROCPRIM_304000_NS6detail45device_block_merge_mergepath_partition_kernelINS1_37wrapped_merge_sort_block_merge_configINS0_14default_configEiN2at4cuda3cub6detail10OpaqueTypeILi2EEEEEPijNS1_19radix_merge_compareILb0ELb0EiNS0_19identity_decomposerEEEEEvT0_T1_jPSH_T2_SH_.uses_flat_scratch, 0
	.set _ZN7rocprim17ROCPRIM_304000_NS6detail45device_block_merge_mergepath_partition_kernelINS1_37wrapped_merge_sort_block_merge_configINS0_14default_configEiN2at4cuda3cub6detail10OpaqueTypeILi2EEEEEPijNS1_19radix_merge_compareILb0ELb0EiNS0_19identity_decomposerEEEEEvT0_T1_jPSH_T2_SH_.has_dyn_sized_stack, 0
	.set _ZN7rocprim17ROCPRIM_304000_NS6detail45device_block_merge_mergepath_partition_kernelINS1_37wrapped_merge_sort_block_merge_configINS0_14default_configEiN2at4cuda3cub6detail10OpaqueTypeILi2EEEEEPijNS1_19radix_merge_compareILb0ELb0EiNS0_19identity_decomposerEEEEEvT0_T1_jPSH_T2_SH_.has_recursion, 0
	.set _ZN7rocprim17ROCPRIM_304000_NS6detail45device_block_merge_mergepath_partition_kernelINS1_37wrapped_merge_sort_block_merge_configINS0_14default_configEiN2at4cuda3cub6detail10OpaqueTypeILi2EEEEEPijNS1_19radix_merge_compareILb0ELb0EiNS0_19identity_decomposerEEEEEvT0_T1_jPSH_T2_SH_.has_indirect_call, 0
	.section	.AMDGPU.csdata,"",@progbits
; Kernel info:
; codeLenInByte = 320
; TotalNumSgprs: 12
; NumVgprs: 17
; NumAgprs: 0
; TotalNumVgprs: 17
; ScratchSize: 0
; MemoryBound: 0
; FloatMode: 240
; IeeeMode: 1
; LDSByteSize: 0 bytes/workgroup (compile time only)
; SGPRBlocks: 1
; VGPRBlocks: 2
; NumSGPRsForWavesPerEU: 12
; NumVGPRsForWavesPerEU: 17
; AccumOffset: 20
; Occupancy: 8
; WaveLimiterHint : 0
; COMPUTE_PGM_RSRC2:SCRATCH_EN: 0
; COMPUTE_PGM_RSRC2:USER_SGPR: 2
; COMPUTE_PGM_RSRC2:TRAP_HANDLER: 0
; COMPUTE_PGM_RSRC2:TGID_X_EN: 1
; COMPUTE_PGM_RSRC2:TGID_Y_EN: 0
; COMPUTE_PGM_RSRC2:TGID_Z_EN: 0
; COMPUTE_PGM_RSRC2:TIDIG_COMP_CNT: 0
; COMPUTE_PGM_RSRC3_GFX90A:ACCUM_OFFSET: 4
; COMPUTE_PGM_RSRC3_GFX90A:TG_SPLIT: 0
	.section	.text._ZN7rocprim17ROCPRIM_304000_NS6detail35device_block_merge_mergepath_kernelINS1_37wrapped_merge_sort_block_merge_configINS0_14default_configEiN2at4cuda3cub6detail10OpaqueTypeILi2EEEEEPiSC_PSA_SD_jNS1_19radix_merge_compareILb0ELb0EiNS0_19identity_decomposerEEEEEvT0_T1_T2_T3_T4_SL_jT5_PKSL_NS1_7vsmem_tE,"axG",@progbits,_ZN7rocprim17ROCPRIM_304000_NS6detail35device_block_merge_mergepath_kernelINS1_37wrapped_merge_sort_block_merge_configINS0_14default_configEiN2at4cuda3cub6detail10OpaqueTypeILi2EEEEEPiSC_PSA_SD_jNS1_19radix_merge_compareILb0ELb0EiNS0_19identity_decomposerEEEEEvT0_T1_T2_T3_T4_SL_jT5_PKSL_NS1_7vsmem_tE,comdat
	.protected	_ZN7rocprim17ROCPRIM_304000_NS6detail35device_block_merge_mergepath_kernelINS1_37wrapped_merge_sort_block_merge_configINS0_14default_configEiN2at4cuda3cub6detail10OpaqueTypeILi2EEEEEPiSC_PSA_SD_jNS1_19radix_merge_compareILb0ELb0EiNS0_19identity_decomposerEEEEEvT0_T1_T2_T3_T4_SL_jT5_PKSL_NS1_7vsmem_tE ; -- Begin function _ZN7rocprim17ROCPRIM_304000_NS6detail35device_block_merge_mergepath_kernelINS1_37wrapped_merge_sort_block_merge_configINS0_14default_configEiN2at4cuda3cub6detail10OpaqueTypeILi2EEEEEPiSC_PSA_SD_jNS1_19radix_merge_compareILb0ELb0EiNS0_19identity_decomposerEEEEEvT0_T1_T2_T3_T4_SL_jT5_PKSL_NS1_7vsmem_tE
	.globl	_ZN7rocprim17ROCPRIM_304000_NS6detail35device_block_merge_mergepath_kernelINS1_37wrapped_merge_sort_block_merge_configINS0_14default_configEiN2at4cuda3cub6detail10OpaqueTypeILi2EEEEEPiSC_PSA_SD_jNS1_19radix_merge_compareILb0ELb0EiNS0_19identity_decomposerEEEEEvT0_T1_T2_T3_T4_SL_jT5_PKSL_NS1_7vsmem_tE
	.p2align	8
	.type	_ZN7rocprim17ROCPRIM_304000_NS6detail35device_block_merge_mergepath_kernelINS1_37wrapped_merge_sort_block_merge_configINS0_14default_configEiN2at4cuda3cub6detail10OpaqueTypeILi2EEEEEPiSC_PSA_SD_jNS1_19radix_merge_compareILb0ELb0EiNS0_19identity_decomposerEEEEEvT0_T1_T2_T3_T4_SL_jT5_PKSL_NS1_7vsmem_tE,@function
_ZN7rocprim17ROCPRIM_304000_NS6detail35device_block_merge_mergepath_kernelINS1_37wrapped_merge_sort_block_merge_configINS0_14default_configEiN2at4cuda3cub6detail10OpaqueTypeILi2EEEEEPiSC_PSA_SD_jNS1_19radix_merge_compareILb0ELb0EiNS0_19identity_decomposerEEEEEvT0_T1_T2_T3_T4_SL_jT5_PKSL_NS1_7vsmem_tE: ; @_ZN7rocprim17ROCPRIM_304000_NS6detail35device_block_merge_mergepath_kernelINS1_37wrapped_merge_sort_block_merge_configINS0_14default_configEiN2at4cuda3cub6detail10OpaqueTypeILi2EEEEEPiSC_PSA_SD_jNS1_19radix_merge_compareILb0ELb0EiNS0_19identity_decomposerEEEEEvT0_T1_T2_T3_T4_SL_jT5_PKSL_NS1_7vsmem_tE
; %bb.0:
	s_load_dwordx2 s[28:29], s[0:1], 0x40
	s_load_dwordx4 s[16:19], s[0:1], 0x20
	s_add_u32 s26, s0, 64
	s_addc_u32 s27, s1, 0
	s_waitcnt lgkmcnt(0)
	s_mul_i32 s4, s29, s4
	s_add_i32 s3, s4, s3
	s_mul_i32 s3, s3, s28
	s_add_i32 s6, s3, s2
	s_cmp_ge_u32 s6, s18
	s_cbranch_scc1 .LBB18_69
; %bb.1:
	s_load_dwordx8 s[8:15], s[0:1], 0x0
	s_load_dwordx2 s[4:5], s[0:1], 0x30
	s_lshr_b32 s30, s16, 10
	s_cmp_lg_u32 s6, s30
	s_mov_b32 s7, 0
	s_cselect_b64 s[20:21], -1, 0
	s_lshl_b64 s[0:1], s[6:7], 2
	s_waitcnt lgkmcnt(0)
	s_add_u32 s0, s4, s0
	s_addc_u32 s1, s5, s1
	s_load_dwordx2 s[22:23], s[0:1], 0x0
	s_lshr_b32 s0, s17, 9
	s_and_b32 s0, s0, 0x7ffffe
	s_sub_i32 s0, 0, s0
	s_and_b32 s1, s6, s0
	s_lshl_b32 s3, s1, 10
	s_lshl_b32 s18, s6, 10
	;; [unrolled: 1-line block ×3, first 2 shown]
	s_sub_i32 s4, s18, s3
	s_add_i32 s1, s1, s17
	s_add_i32 s4, s1, s4
	s_waitcnt lgkmcnt(0)
	s_sub_i32 s5, s4, s22
	s_sub_i32 s4, s4, s23
	s_sub_i32 s1, s1, s3
	s_min_u32 s24, s16, s5
	s_addk_i32 s4, 0x400
	s_or_b32 s0, s6, s0
	s_min_u32 s3, s16, s1
	s_add_i32 s1, s1, s17
	s_cmp_eq_u32 s0, -1
	s_cselect_b32 s0, s1, s4
	s_cselect_b32 s1, s3, s23
	s_min_u32 s0, s0, s16
	s_mov_b32 s23, s7
	s_sub_i32 s19, s1, s22
	s_sub_i32 s29, s0, s24
	s_lshl_b64 s[0:1], s[22:23], 2
	s_add_u32 s0, s8, s0
	s_mov_b32 s25, s7
	s_addc_u32 s1, s9, s1
	s_lshl_b64 s[4:5], s[24:25], 2
	s_add_u32 s4, s8, s4
	s_addc_u32 s5, s9, s5
	s_cmp_lt_u32 s2, s28
	v_mov_b32_e32 v7, 0
	s_cselect_b32 s2, 12, 18
	global_load_dword v1, v7, s[26:27] offset:14
	s_add_u32 s2, s26, s2
	s_addc_u32 s3, s27, 0
	global_load_ushort v2, v7, s[2:3]
	v_cmp_gt_u32_e32 vcc, s19, v0
	s_cmp_eq_u32 s6, s30
	v_lshlrev_b32_e32 v6, 2, v0
	s_waitcnt vmcnt(1)
	v_lshrrev_b32_e32 v3, 16, v1
	v_and_b32_e32 v1, 0xffff, v1
	v_mul_lo_u32 v1, v1, v3
	s_waitcnt vmcnt(0)
	v_mul_lo_u32 v1, v1, v2
	v_add_u32_e32 v8, v1, v0
	s_cbranch_scc1 .LBB18_3
; %bb.2:
	v_subrev_u32_e32 v4, s19, v0
	v_lshlrev_b32_e32 v4, 2, v4
	v_mov_b32_e32 v5, v7
	v_lshl_add_u64 v[2:3], s[0:1], 0, v[6:7]
	v_lshl_add_u64 v[4:5], s[4:5], 0, v[4:5]
	v_cndmask_b32_e32 v3, v5, v3, vcc
	v_cndmask_b32_e32 v2, v4, v2, vcc
	v_mov_b32_e32 v9, v7
	v_subrev_co_u32_e32 v10, vcc, s19, v8
	v_mov_b32_e32 v11, v7
	v_lshl_add_u64 v[4:5], v[8:9], 2, s[0:1]
	v_lshl_add_u64 v[10:11], v[10:11], 2, s[4:5]
	v_cndmask_b32_e32 v4, v10, v4, vcc
	v_add_u32_e32 v10, v8, v1
	v_cndmask_b32_e32 v5, v11, v5, vcc
	v_mov_b32_e32 v11, v7
	v_subrev_co_u32_e32 v12, vcc, s19, v10
	v_mov_b32_e32 v13, v7
	global_load_dword v2, v[2:3], off
	v_lshl_add_u64 v[12:13], v[12:13], 2, s[4:5]
	global_load_dword v3, v[4:5], off
	v_lshl_add_u64 v[4:5], v[10:11], 2, s[0:1]
	v_add_u32_e32 v10, v10, v1
	v_cndmask_b32_e32 v5, v13, v5, vcc
	v_cndmask_b32_e32 v4, v12, v4, vcc
	v_lshl_add_u64 v[12:13], v[10:11], 2, s[0:1]
	v_subrev_co_u32_e32 v10, vcc, s19, v10
	v_lshl_add_u64 v[10:11], v[10:11], 2, s[4:5]
	s_nop 0
	v_cndmask_b32_e32 v11, v11, v13, vcc
	v_cndmask_b32_e32 v10, v10, v12, vcc
	global_load_dword v4, v[4:5], off
	s_add_i32 s17, s29, s19
	global_load_dword v5, v[10:11], off
	s_cbranch_execz .LBB18_4
	s_branch .LBB18_13
.LBB18_3:
                                        ; implicit-def: $vgpr2_vgpr3_vgpr4_vgpr5
                                        ; implicit-def: $sgpr17
.LBB18_4:
	s_add_i32 s17, s29, s19
	s_waitcnt vmcnt(3)
	v_mov_b32_e32 v2, 0
	v_cmp_gt_u32_e32 vcc, s17, v0
	s_waitcnt vmcnt(2)
	v_mov_b32_e32 v3, v2
	s_waitcnt vmcnt(1)
	v_mov_b32_e32 v4, v2
	;; [unrolled: 2-line block ×3, first 2 shown]
	s_and_saveexec_b64 s[2:3], vcc
	s_cbranch_execz .LBB18_6
; %bb.5:
	v_subrev_u32_e32 v3, s19, v0
	v_mov_b32_e32 v7, v2
	v_lshlrev_b32_e32 v10, 2, v3
	v_mov_b32_e32 v11, v2
	v_lshl_add_u64 v[4:5], s[0:1], 0, v[6:7]
	v_lshl_add_u64 v[10:11], s[4:5], 0, v[10:11]
	v_cmp_gt_u32_e32 vcc, s19, v0
	v_mov_b32_e32 v12, v2
	v_mov_b32_e32 v13, v2
	v_cndmask_b32_e32 v5, v11, v5, vcc
	v_cndmask_b32_e32 v4, v10, v4, vcc
	global_load_dword v10, v[4:5], off
	v_mov_b32_e32 v11, v2
	s_waitcnt vmcnt(0)
	v_mov_b64_e32 v[2:3], v[10:11]
	v_mov_b64_e32 v[4:5], v[12:13]
.LBB18_6:
	s_or_b64 exec, exec, s[2:3]
	v_cmp_gt_u32_e32 vcc, s17, v8
	s_and_saveexec_b64 s[2:3], vcc
	s_cbranch_execz .LBB18_8
; %bb.7:
	v_mov_b32_e32 v9, 0
	v_subrev_co_u32_e32 v12, vcc, s19, v8
	v_mov_b32_e32 v13, v9
	v_lshl_add_u64 v[10:11], v[8:9], 2, s[0:1]
	v_lshl_add_u64 v[12:13], v[12:13], 2, s[4:5]
	v_cndmask_b32_e32 v11, v13, v11, vcc
	v_cndmask_b32_e32 v10, v12, v10, vcc
	global_load_dword v3, v[10:11], off
.LBB18_8:
	s_or_b64 exec, exec, s[2:3]
	v_add_u32_e32 v8, v8, v1
	v_cmp_gt_u32_e32 vcc, s17, v8
	s_and_saveexec_b64 s[2:3], vcc
	s_cbranch_execz .LBB18_10
; %bb.9:
	v_mov_b32_e32 v9, 0
	v_subrev_co_u32_e32 v12, vcc, s19, v8
	v_mov_b32_e32 v13, v9
	v_lshl_add_u64 v[10:11], v[8:9], 2, s[0:1]
	v_lshl_add_u64 v[12:13], v[12:13], 2, s[4:5]
	v_cndmask_b32_e32 v11, v13, v11, vcc
	v_cndmask_b32_e32 v10, v12, v10, vcc
	global_load_dword v4, v[10:11], off
.LBB18_10:
	s_or_b64 exec, exec, s[2:3]
	v_add_u32_e32 v8, v8, v1
	v_cmp_gt_u32_e32 vcc, s17, v8
	s_and_saveexec_b64 s[2:3], vcc
	s_cbranch_execz .LBB18_12
; %bb.11:
	v_mov_b32_e32 v9, 0
	v_lshl_add_u64 v[10:11], v[8:9], 2, s[0:1]
	v_subrev_co_u32_e32 v8, vcc, s19, v8
	v_lshl_add_u64 v[8:9], v[8:9], 2, s[4:5]
	s_nop 0
	v_cndmask_b32_e32 v9, v9, v11, vcc
	v_cndmask_b32_e32 v8, v8, v10, vcc
	global_load_dword v5, v[8:9], off
.LBB18_12:
	s_or_b64 exec, exec, s[2:3]
.LBB18_13:
	v_min_u32_e32 v1, s17, v6
	v_sub_u32_e64 v8, v1, s29 clamp
	v_min_u32_e32 v7, s19, v1
	v_cmp_lt_u32_e32 vcc, v8, v7
	s_waitcnt vmcnt(0)
	ds_write2st64_b32 v6, v2, v3 offset1:4
	ds_write2st64_b32 v6, v4, v5 offset0:8 offset1:12
	s_waitcnt lgkmcnt(0)
	s_barrier
	s_and_saveexec_b64 s[0:1], vcc
	s_cbranch_execz .LBB18_17
; %bb.14:
	v_lshlrev_b32_e32 v9, 2, v1
	v_lshl_add_u32 v9, s19, 2, v9
	s_mov_b64 s[2:3], 0
.LBB18_15:                              ; =>This Inner Loop Header: Depth=1
	v_add_u32_e32 v10, v7, v8
	v_lshrrev_b32_e32 v10, 1, v10
	v_not_b32_e32 v11, v10
	v_lshlrev_b32_e32 v12, 2, v10
	v_lshl_add_u32 v11, v11, 2, v9
	ds_read_b32 v12, v12
	ds_read_b32 v11, v11
	v_add_u32_e32 v13, 1, v10
	s_waitcnt lgkmcnt(0)
	v_cmp_gt_i32_e32 vcc, v12, v11
	s_nop 1
	v_cndmask_b32_e32 v7, v7, v10, vcc
	v_cndmask_b32_e32 v8, v13, v8, vcc
	v_cmp_ge_u32_e32 vcc, v8, v7
	s_or_b64 s[2:3], vcc, s[2:3]
	s_andn2_b64 exec, exec, s[2:3]
	s_cbranch_execnz .LBB18_15
; %bb.16:
	s_or_b64 exec, exec, s[2:3]
.LBB18_17:
	s_or_b64 exec, exec, s[0:1]
	v_sub_u32_e32 v1, v1, v8
	v_add_u32_e32 v9, s19, v1
	v_cmp_ge_u32_e32 vcc, s19, v8
	v_cmp_ge_u32_e64 s[0:1], s17, v9
	s_or_b64 s[0:1], vcc, s[0:1]
	v_mov_b32_e32 v1, 0
	v_mov_b32_e32 v7, 0
	;; [unrolled: 1-line block ×4, first 2 shown]
	s_and_saveexec_b64 s[8:9], s[0:1]
	s_cbranch_execz .LBB18_23
; %bb.18:
	v_cmp_gt_u32_e32 vcc, s19, v8
                                        ; implicit-def: $vgpr1
	s_and_saveexec_b64 s[0:1], vcc
; %bb.19:
	v_lshlrev_b32_e32 v1, 2, v8
	ds_read_b32 v1, v1
; %bb.20:
	s_or_b64 exec, exec, s[0:1]
	v_cmp_le_u32_e64 s[0:1], s17, v9
	v_cmp_gt_u32_e64 s[2:3], s17, v9
                                        ; implicit-def: $vgpr2
	s_and_saveexec_b64 s[4:5], s[2:3]
; %bb.21:
	v_lshlrev_b32_e32 v2, 2, v9
	ds_read_b32 v2, v2
; %bb.22:
	s_or_b64 exec, exec, s[4:5]
	s_waitcnt lgkmcnt(0)
	v_cmp_le_i32_e64 s[2:3], v1, v2
	s_and_b64 s[2:3], vcc, s[2:3]
	s_or_b64 vcc, s[0:1], s[2:3]
	v_mov_b32_e32 v3, s17
	v_mov_b32_e32 v4, s19
	v_cndmask_b32_e32 v15, v9, v8, vcc
	v_cndmask_b32_e32 v5, v3, v4, vcc
	v_add_u32_e32 v7, 1, v15
	v_add_u32_e32 v5, -1, v5
	v_min_u32_e32 v5, v7, v5
	v_lshlrev_b32_e32 v5, 2, v5
	ds_read_b32 v5, v5
	v_cndmask_b32_e32 v9, v7, v9, vcc
	v_cndmask_b32_e32 v7, v8, v7, vcc
	v_cmp_gt_u32_e64 s[2:3], s19, v7
	v_cmp_le_u32_e64 s[0:1], s17, v9
	s_waitcnt lgkmcnt(0)
	v_cndmask_b32_e32 v10, v5, v2, vcc
	v_cndmask_b32_e32 v5, v1, v5, vcc
	v_cmp_le_i32_e64 s[4:5], v5, v10
	s_and_b64 s[2:3], s[2:3], s[4:5]
	s_or_b64 s[0:1], s[0:1], s[2:3]
	v_cndmask_b32_e64 v14, v9, v7, s[0:1]
	v_cndmask_b32_e64 v8, v3, v4, s[0:1]
	v_add_u32_e32 v11, 1, v14
	v_add_u32_e32 v8, -1, v8
	v_min_u32_e32 v8, v11, v8
	v_lshlrev_b32_e32 v8, 2, v8
	ds_read_b32 v8, v8
	v_cndmask_b32_e64 v9, v11, v9, s[0:1]
	v_cndmask_b32_e64 v11, v7, v11, s[0:1]
	v_cmp_gt_u32_e64 s[4:5], s19, v11
	v_cmp_le_u32_e64 s[2:3], s17, v9
	s_waitcnt lgkmcnt(0)
	v_cndmask_b32_e64 v12, v8, v10, s[0:1]
	v_cndmask_b32_e64 v8, v5, v8, s[0:1]
	v_cmp_le_i32_e64 s[6:7], v8, v12
	s_and_b64 s[4:5], s[4:5], s[6:7]
	s_or_b64 s[2:3], s[2:3], s[4:5]
	v_cndmask_b32_e64 v7, v9, v11, s[2:3]
	v_cndmask_b32_e64 v3, v3, v4, s[2:3]
	v_add_u32_e32 v13, 1, v7
	v_add_u32_e32 v3, -1, v3
	v_min_u32_e32 v3, v13, v3
	v_lshlrev_b32_e32 v3, 2, v3
	ds_read_b32 v16, v3
	v_cndmask_b32_e32 v2, v2, v1, vcc
	v_cndmask_b32_e64 v3, v10, v5, s[0:1]
	v_cndmask_b32_e64 v4, v12, v8, s[2:3]
	;; [unrolled: 1-line block ×3, first 2 shown]
	s_waitcnt lgkmcnt(0)
	v_cndmask_b32_e64 v5, v16, v12, s[2:3]
	v_cndmask_b32_e64 v8, v8, v16, s[2:3]
	;; [unrolled: 1-line block ×3, first 2 shown]
	v_cmp_gt_u32_e64 s[0:1], s19, v9
	v_cmp_le_i32_e64 s[2:3], v8, v5
	v_cmp_le_u32_e32 vcc, s17, v1
	s_and_b64 s[0:1], s[0:1], s[2:3]
	s_or_b64 vcc, vcc, s[0:1]
	v_cndmask_b32_e32 v1, v1, v9, vcc
	v_cndmask_b32_e32 v5, v5, v8, vcc
.LBB18_23:
	s_or_b64 exec, exec, s[8:9]
	s_lshl_b64 s[0:1], s[22:23], 1
	s_add_u32 s8, s12, s0
	s_addc_u32 s9, s13, s1
	s_lshl_b64 s[0:1], s[24:25], 1
	s_add_u32 s6, s12, s0
	v_cndmask_b32_e64 v8, 0, 1, s[20:21]
	v_mov_b32_e32 v9, 0
	s_addc_u32 s7, s13, s1
	v_cmp_gt_u32_e64 s[4:5], s19, v0
	v_cmp_le_u32_e64 s[2:3], s19, v0
	v_cmp_ne_u32_e64 s[0:1], 1, v8
	s_andn2_b64 vcc, exec, s[20:21]
	v_lshlrev_b32_e32 v8, 1, v0
	s_barrier
	s_cbranch_vccnz .LBB18_25
; %bb.24:
	v_subrev_u32_e32 v12, s19, v0
	v_lshlrev_b32_e32 v12, 1, v12
	v_mov_b32_e32 v13, v9
	v_lshl_add_u64 v[10:11], s[8:9], 0, v[8:9]
	v_lshl_add_u64 v[12:13], s[6:7], 0, v[12:13]
	v_cndmask_b32_e64 v11, v13, v11, s[4:5]
	v_cndmask_b32_e64 v10, v12, v10, s[4:5]
	global_load_ushort v16, v[10:11], off
	v_or_b32_e32 v10, 0x100, v0
	v_subrev_u32_e32 v11, s19, v10
	v_min_u32_e32 v12, v10, v11
	v_mov_b32_e32 v17, s7
	v_mov_b32_e32 v18, s9
	v_cmp_gt_u32_e32 vcc, s19, v10
	v_mov_b32_e32 v19, s6
	v_mov_b32_e32 v20, s8
	v_cndmask_b32_e32 v11, v17, v18, vcc
	v_cndmask_b32_e32 v10, v19, v20, vcc
	v_lshlrev_b32_e32 v12, 1, v12
	v_mov_b32_e32 v13, v9
	v_lshl_add_u64 v[10:11], v[10:11], 0, v[12:13]
	global_load_ushort v21, v[10:11], off
	v_or_b32_e32 v10, 0x200, v0
	v_subrev_u32_e32 v11, s19, v10
	v_min_u32_e32 v12, v10, v11
	v_cmp_gt_u32_e32 vcc, s19, v10
	v_lshlrev_b32_e32 v12, 1, v12
	v_or_b32_e32 v9, 0x300, v0
	v_cndmask_b32_e32 v11, v17, v18, vcc
	v_cndmask_b32_e32 v10, v19, v20, vcc
	v_lshl_add_u64 v[10:11], v[10:11], 0, v[12:13]
	global_load_ushort v13, v[10:11], off
	v_subrev_u32_e32 v10, s19, v9
	v_cmp_gt_u32_e32 vcc, s19, v9
	v_min_u32_e32 v12, v9, v10
	s_nop 0
	v_cndmask_b32_e32 v11, v17, v18, vcc
	v_cndmask_b32_e32 v10, v19, v20, vcc
	s_mov_b64 s[4:5], -1
	s_waitcnt vmcnt(2)
	ds_write_b16 v8, v16
	s_waitcnt vmcnt(1)
	ds_write_b16 v8, v21 offset:512
	s_waitcnt vmcnt(0)
	ds_write_b16 v8, v13 offset:1024
	s_cbranch_execz .LBB18_26
	s_branch .LBB18_43
.LBB18_25:
	s_mov_b64 s[4:5], 0
                                        ; implicit-def: $vgpr9
                                        ; implicit-def: $vgpr10_vgpr11
                                        ; implicit-def: $vgpr12
.LBB18_26:
	s_and_saveexec_b64 s[4:5], s[2:3]
	s_xor_b64 s[2:3], exec, s[4:5]
	s_cbranch_execz .LBB18_30
; %bb.27:
	v_subrev_u32_e32 v9, s19, v0
	v_cmp_gt_u32_e32 vcc, s29, v9
	s_and_saveexec_b64 s[4:5], vcc
	s_cbranch_execz .LBB18_29
; %bb.28:
	v_lshlrev_b32_e32 v9, 1, v9
	global_load_ushort v9, v9, s[6:7]
	v_sub_u32_e32 v10, v6, v8
	s_waitcnt vmcnt(0)
	ds_write_b16 v10, v9
.LBB18_29:
	s_or_b64 exec, exec, s[4:5]
.LBB18_30:
	s_andn2_saveexec_b64 s[2:3], s[2:3]
	s_cbranch_execz .LBB18_32
; %bb.31:
	global_load_ushort v9, v8, s[8:9]
	v_sub_u32_e32 v10, v6, v8
	s_waitcnt vmcnt(0)
	ds_write_b16 v10, v9
.LBB18_32:
	s_or_b64 exec, exec, s[2:3]
	v_or_b32_e32 v9, 0x100, v0
	v_cmp_le_u32_e32 vcc, s19, v9
	s_mov_b64 s[2:3], -1
	v_mov_b64_e32 v[10:11], s[22:23]
	s_and_saveexec_b64 s[4:5], vcc
; %bb.33:
	v_subrev_u32_e32 v9, s19, v9
	v_cmp_gt_u32_e32 vcc, s29, v9
	v_mov_b64_e32 v[10:11], s[24:25]
	s_orn2_b64 s[2:3], vcc, exec
; %bb.34:
	s_or_b64 exec, exec, s[4:5]
	s_and_saveexec_b64 s[4:5], s[2:3]
	s_cbranch_execz .LBB18_36
; %bb.35:
	v_lshl_add_u64 v[10:11], v[10:11], 1, s[12:13]
	v_lshlrev_b32_e32 v12, 1, v9
	v_mov_b32_e32 v13, 0
	v_lshl_add_u64 v[10:11], v[10:11], 0, v[12:13]
	global_load_ushort v9, v[10:11], off
	v_sub_u32_e32 v10, v6, v8
	s_waitcnt vmcnt(0)
	ds_write_b16 v10, v9 offset:512
.LBB18_36:
	s_or_b64 exec, exec, s[4:5]
	v_or_b32_e32 v9, 0x200, v0
	v_cmp_le_u32_e32 vcc, s19, v9
	s_mov_b64 s[2:3], -1
	v_mov_b64_e32 v[10:11], s[22:23]
	s_and_saveexec_b64 s[4:5], vcc
; %bb.37:
	v_subrev_u32_e32 v9, s19, v9
	v_cmp_gt_u32_e32 vcc, s29, v9
	v_mov_b64_e32 v[10:11], s[24:25]
	s_orn2_b64 s[2:3], vcc, exec
; %bb.38:
	s_or_b64 exec, exec, s[4:5]
	s_and_saveexec_b64 s[4:5], s[2:3]
	s_cbranch_execz .LBB18_40
; %bb.39:
	v_lshl_add_u64 v[10:11], v[10:11], 1, s[12:13]
	v_lshlrev_b32_e32 v12, 1, v9
	v_mov_b32_e32 v13, 0
	v_lshl_add_u64 v[10:11], v[10:11], 0, v[12:13]
	global_load_ushort v9, v[10:11], off
	v_sub_u32_e32 v8, v6, v8
	s_waitcnt vmcnt(0)
	ds_write_b16 v8, v9 offset:1024
.LBB18_40:
	s_or_b64 exec, exec, s[4:5]
	v_or_b32_e32 v9, 0x300, v0
	v_cmp_le_u32_e32 vcc, s19, v9
	s_mov_b64 s[4:5], -1
	v_mov_b64_e32 v[10:11], s[8:9]
	v_mov_b32_e32 v12, v9
	s_and_saveexec_b64 s[2:3], vcc
; %bb.41:
	v_subrev_u32_e32 v12, s19, v9
	v_cmp_gt_u32_e32 vcc, s29, v12
	v_mov_b64_e32 v[10:11], s[6:7]
	s_orn2_b64 s[4:5], vcc, exec
; %bb.42:
	s_or_b64 exec, exec, s[2:3]
.LBB18_43:
	s_and_saveexec_b64 s[2:3], s[4:5]
	s_cbranch_execz .LBB18_45
; %bb.44:
	v_mov_b32_e32 v13, 0
	v_lshl_add_u64 v[10:11], v[12:13], 1, v[10:11]
	global_load_ushort v8, v[10:11], off
	v_lshlrev_b32_e32 v9, 1, v9
	s_waitcnt vmcnt(0)
	ds_write_b16 v9, v8
.LBB18_45:
	s_or_b64 exec, exec, s[2:3]
	s_and_b64 vcc, exec, s[0:1]
	v_add_u32_e32 v8, s18, v6
	s_waitcnt lgkmcnt(0)
	s_barrier
	s_cbranch_vccnz .LBB18_47
; %bb.46:
	v_lshlrev_b32_e32 v9, 1, v15
	v_lshlrev_b32_e32 v10, 1, v14
	;; [unrolled: 1-line block ×3, first 2 shown]
	ds_read_u16 v12, v9
	ds_read_u16 v13, v10
	;; [unrolled: 1-line block ×3, first 2 shown]
	v_mov_b32_e32 v9, 0
	s_mov_b32 s0, 0x5040100
	v_lshl_add_u64 v[10:11], v[8:9], 1, s[14:15]
	s_waitcnt lgkmcnt(1)
	v_perm_b32 v12, v13, v12, s0
	s_mov_b64 s[0:1], -1
	s_waitcnt lgkmcnt(0)
	global_store_short v[10:11], v16, off offset:4
	global_store_dword v[10:11], v12, off
	s_cbranch_execz .LBB18_48
	s_branch .LBB18_57
.LBB18_47:
	s_mov_b64 s[0:1], 0
.LBB18_48:
	v_cmp_gt_u32_e32 vcc, s17, v6
	s_and_saveexec_b64 s[2:3], vcc
	s_cbranch_execz .LBB18_50
; %bb.49:
	v_lshlrev_b32_e32 v9, 1, v15
	ds_read_u16 v12, v9
	v_mov_b32_e32 v9, 0
	v_lshl_add_u64 v[10:11], v[8:9], 1, s[14:15]
	s_waitcnt lgkmcnt(0)
	global_store_short v[10:11], v12, off
.LBB18_50:
	s_or_b64 exec, exec, s[2:3]
	v_or_b32_e32 v9, 1, v6
	v_cmp_gt_u32_e32 vcc, s17, v9
	s_and_saveexec_b64 s[2:3], vcc
	s_cbranch_execz .LBB18_52
; %bb.51:
	v_lshlrev_b32_e32 v9, 1, v14
	ds_read_u16 v12, v9
	v_mov_b32_e32 v9, 0
	v_lshl_add_u64 v[10:11], v[8:9], 1, s[14:15]
	s_waitcnt lgkmcnt(0)
	global_store_short v[10:11], v12, off offset:2
.LBB18_52:
	s_or_b64 exec, exec, s[2:3]
	v_or_b32_e32 v9, 2, v6
	v_cmp_gt_u32_e32 vcc, s17, v9
	s_and_saveexec_b64 s[2:3], vcc
	s_cbranch_execz .LBB18_54
; %bb.53:
	v_lshlrev_b32_e32 v7, 1, v7
	ds_read_u16 v7, v7
	v_mov_b32_e32 v9, 0
	v_lshl_add_u64 v[10:11], v[8:9], 1, s[14:15]
	s_waitcnt lgkmcnt(0)
	global_store_short v[10:11], v7, off offset:4
.LBB18_54:
	s_or_b64 exec, exec, s[2:3]
	v_or_b32_e32 v7, 3, v6
	v_cmp_gt_u32_e32 vcc, s17, v7
	s_and_saveexec_b64 s[2:3], vcc
; %bb.55:
	v_mov_b32_e32 v9, 0
	s_or_b64 s[0:1], s[0:1], exec
; %bb.56:
	s_or_b64 exec, exec, s[2:3]
.LBB18_57:
	s_and_saveexec_b64 s[2:3], s[0:1]
	s_cbranch_execz .LBB18_59
; %bb.58:
	v_lshlrev_b32_e32 v1, 1, v1
	ds_read_u16 v1, v1
	v_lshl_add_u64 v[8:9], v[8:9], 1, s[14:15]
	s_waitcnt lgkmcnt(0)
	global_store_short v[8:9], v1, off offset:6
.LBB18_59:
	s_or_b64 exec, exec, s[2:3]
	v_lshrrev_b32_e32 v1, 3, v0
	v_lshlrev_b32_e32 v7, 2, v6
	v_lshl_add_u32 v7, v1, 2, v7
	s_barrier
	s_barrier
	ds_write2_b32 v7, v2, v3 offset1:1
	ds_write2_b32 v7, v4, v5 offset0:2 offset1:3
	v_and_b32_e32 v1, 28, v1
	v_or_b32_e32 v5, 0x100, v0
	v_add_u32_e32 v8, v1, v6
	v_lshrrev_b32_e32 v1, 3, v5
	v_and_b32_e32 v1, 60, v1
	v_or_b32_e32 v4, 0x200, v0
	v_add_u32_e32 v9, v1, v6
	v_lshrrev_b32_e32 v1, 3, v4
	s_mov_b32 s19, 0
	v_and_b32_e32 v1, 0x5c, v1
	s_lshl_b64 s[0:1], s[18:19], 2
	v_add_u32_e32 v10, v1, v6
	v_or_b32_e32 v1, 0x300, v0
	s_add_u32 s0, s10, s0
	v_lshrrev_b32_e32 v2, 3, v1
	s_addc_u32 s1, s11, s1
	v_and_b32_e32 v2, 0x7c, v2
	v_mov_b32_e32 v7, 0
	v_add_u32_e32 v11, v2, v6
	v_lshl_add_u64 v[2:3], s[0:1], 0, v[6:7]
	s_and_b64 vcc, exec, s[20:21]
	s_waitcnt lgkmcnt(0)
	s_cbranch_vccz .LBB18_61
; %bb.60:
	s_barrier
	ds_read_b32 v6, v8
	ds_read_b32 v7, v9 offset:1024
	ds_read_b32 v13, v10 offset:2048
	;; [unrolled: 1-line block ×3, first 2 shown]
	s_waitcnt lgkmcnt(3)
	global_store_dword v[2:3], v6, off
	s_waitcnt lgkmcnt(2)
	global_store_dword v[2:3], v7, off offset:1024
	s_waitcnt lgkmcnt(1)
	global_store_dword v[2:3], v13, off offset:2048
	s_mov_b64 s[0:1], -1
	s_cbranch_execz .LBB18_62
	s_branch .LBB18_67
.LBB18_61:
	s_mov_b64 s[0:1], 0
                                        ; implicit-def: $vgpr12
.LBB18_62:
	s_barrier
	s_waitcnt lgkmcnt(0)
	ds_read_b32 v7, v9 offset:1024
	ds_read_b32 v6, v10 offset:2048
	;; [unrolled: 1-line block ×3, first 2 shown]
	s_sub_i32 s2, s16, s18
	v_cmp_gt_u32_e32 vcc, s2, v0
	s_and_saveexec_b64 s[0:1], vcc
	s_cbranch_execnz .LBB18_70
; %bb.63:
	s_or_b64 exec, exec, s[0:1]
	v_cmp_gt_u32_e32 vcc, s2, v5
	s_and_saveexec_b64 s[0:1], vcc
	s_cbranch_execnz .LBB18_71
.LBB18_64:
	s_or_b64 exec, exec, s[0:1]
	v_cmp_gt_u32_e32 vcc, s2, v4
	s_and_saveexec_b64 s[0:1], vcc
	s_cbranch_execz .LBB18_66
.LBB18_65:
	s_waitcnt lgkmcnt(1)
	global_store_dword v[2:3], v6, off offset:2048
.LBB18_66:
	s_or_b64 exec, exec, s[0:1]
	v_cmp_gt_u32_e64 s[0:1], s2, v1
.LBB18_67:
	s_and_saveexec_b64 s[2:3], s[0:1]
	s_cbranch_execz .LBB18_69
; %bb.68:
	s_waitcnt lgkmcnt(0)
	global_store_dword v[2:3], v12, off offset:3072
.LBB18_69:
	s_endpgm
.LBB18_70:
	ds_read_b32 v0, v8
	s_waitcnt lgkmcnt(0)
	global_store_dword v[2:3], v0, off
	s_or_b64 exec, exec, s[0:1]
	v_cmp_gt_u32_e32 vcc, s2, v5
	s_and_saveexec_b64 s[0:1], vcc
	s_cbranch_execz .LBB18_64
.LBB18_71:
	s_waitcnt lgkmcnt(2)
	global_store_dword v[2:3], v7, off offset:1024
	s_or_b64 exec, exec, s[0:1]
	v_cmp_gt_u32_e32 vcc, s2, v4
	s_and_saveexec_b64 s[0:1], vcc
	s_cbranch_execnz .LBB18_65
	s_branch .LBB18_66
	.section	.rodata,"a",@progbits
	.p2align	6, 0x0
	.amdhsa_kernel _ZN7rocprim17ROCPRIM_304000_NS6detail35device_block_merge_mergepath_kernelINS1_37wrapped_merge_sort_block_merge_configINS0_14default_configEiN2at4cuda3cub6detail10OpaqueTypeILi2EEEEEPiSC_PSA_SD_jNS1_19radix_merge_compareILb0ELb0EiNS0_19identity_decomposerEEEEEvT0_T1_T2_T3_T4_SL_jT5_PKSL_NS1_7vsmem_tE
		.amdhsa_group_segment_fixed_size 4224
		.amdhsa_private_segment_fixed_size 0
		.amdhsa_kernarg_size 320
		.amdhsa_user_sgpr_count 2
		.amdhsa_user_sgpr_dispatch_ptr 0
		.amdhsa_user_sgpr_queue_ptr 0
		.amdhsa_user_sgpr_kernarg_segment_ptr 1
		.amdhsa_user_sgpr_dispatch_id 0
		.amdhsa_user_sgpr_kernarg_preload_length 0
		.amdhsa_user_sgpr_kernarg_preload_offset 0
		.amdhsa_user_sgpr_private_segment_size 0
		.amdhsa_uses_dynamic_stack 0
		.amdhsa_enable_private_segment 0
		.amdhsa_system_sgpr_workgroup_id_x 1
		.amdhsa_system_sgpr_workgroup_id_y 1
		.amdhsa_system_sgpr_workgroup_id_z 1
		.amdhsa_system_sgpr_workgroup_info 0
		.amdhsa_system_vgpr_workitem_id 0
		.amdhsa_next_free_vgpr 22
		.amdhsa_next_free_sgpr 31
		.amdhsa_accum_offset 24
		.amdhsa_reserve_vcc 1
		.amdhsa_float_round_mode_32 0
		.amdhsa_float_round_mode_16_64 0
		.amdhsa_float_denorm_mode_32 3
		.amdhsa_float_denorm_mode_16_64 3
		.amdhsa_dx10_clamp 1
		.amdhsa_ieee_mode 1
		.amdhsa_fp16_overflow 0
		.amdhsa_tg_split 0
		.amdhsa_exception_fp_ieee_invalid_op 0
		.amdhsa_exception_fp_denorm_src 0
		.amdhsa_exception_fp_ieee_div_zero 0
		.amdhsa_exception_fp_ieee_overflow 0
		.amdhsa_exception_fp_ieee_underflow 0
		.amdhsa_exception_fp_ieee_inexact 0
		.amdhsa_exception_int_div_zero 0
	.end_amdhsa_kernel
	.section	.text._ZN7rocprim17ROCPRIM_304000_NS6detail35device_block_merge_mergepath_kernelINS1_37wrapped_merge_sort_block_merge_configINS0_14default_configEiN2at4cuda3cub6detail10OpaqueTypeILi2EEEEEPiSC_PSA_SD_jNS1_19radix_merge_compareILb0ELb0EiNS0_19identity_decomposerEEEEEvT0_T1_T2_T3_T4_SL_jT5_PKSL_NS1_7vsmem_tE,"axG",@progbits,_ZN7rocprim17ROCPRIM_304000_NS6detail35device_block_merge_mergepath_kernelINS1_37wrapped_merge_sort_block_merge_configINS0_14default_configEiN2at4cuda3cub6detail10OpaqueTypeILi2EEEEEPiSC_PSA_SD_jNS1_19radix_merge_compareILb0ELb0EiNS0_19identity_decomposerEEEEEvT0_T1_T2_T3_T4_SL_jT5_PKSL_NS1_7vsmem_tE,comdat
.Lfunc_end18:
	.size	_ZN7rocprim17ROCPRIM_304000_NS6detail35device_block_merge_mergepath_kernelINS1_37wrapped_merge_sort_block_merge_configINS0_14default_configEiN2at4cuda3cub6detail10OpaqueTypeILi2EEEEEPiSC_PSA_SD_jNS1_19radix_merge_compareILb0ELb0EiNS0_19identity_decomposerEEEEEvT0_T1_T2_T3_T4_SL_jT5_PKSL_NS1_7vsmem_tE, .Lfunc_end18-_ZN7rocprim17ROCPRIM_304000_NS6detail35device_block_merge_mergepath_kernelINS1_37wrapped_merge_sort_block_merge_configINS0_14default_configEiN2at4cuda3cub6detail10OpaqueTypeILi2EEEEEPiSC_PSA_SD_jNS1_19radix_merge_compareILb0ELb0EiNS0_19identity_decomposerEEEEEvT0_T1_T2_T3_T4_SL_jT5_PKSL_NS1_7vsmem_tE
                                        ; -- End function
	.set _ZN7rocprim17ROCPRIM_304000_NS6detail35device_block_merge_mergepath_kernelINS1_37wrapped_merge_sort_block_merge_configINS0_14default_configEiN2at4cuda3cub6detail10OpaqueTypeILi2EEEEEPiSC_PSA_SD_jNS1_19radix_merge_compareILb0ELb0EiNS0_19identity_decomposerEEEEEvT0_T1_T2_T3_T4_SL_jT5_PKSL_NS1_7vsmem_tE.num_vgpr, 22
	.set _ZN7rocprim17ROCPRIM_304000_NS6detail35device_block_merge_mergepath_kernelINS1_37wrapped_merge_sort_block_merge_configINS0_14default_configEiN2at4cuda3cub6detail10OpaqueTypeILi2EEEEEPiSC_PSA_SD_jNS1_19radix_merge_compareILb0ELb0EiNS0_19identity_decomposerEEEEEvT0_T1_T2_T3_T4_SL_jT5_PKSL_NS1_7vsmem_tE.num_agpr, 0
	.set _ZN7rocprim17ROCPRIM_304000_NS6detail35device_block_merge_mergepath_kernelINS1_37wrapped_merge_sort_block_merge_configINS0_14default_configEiN2at4cuda3cub6detail10OpaqueTypeILi2EEEEEPiSC_PSA_SD_jNS1_19radix_merge_compareILb0ELb0EiNS0_19identity_decomposerEEEEEvT0_T1_T2_T3_T4_SL_jT5_PKSL_NS1_7vsmem_tE.numbered_sgpr, 31
	.set _ZN7rocprim17ROCPRIM_304000_NS6detail35device_block_merge_mergepath_kernelINS1_37wrapped_merge_sort_block_merge_configINS0_14default_configEiN2at4cuda3cub6detail10OpaqueTypeILi2EEEEEPiSC_PSA_SD_jNS1_19radix_merge_compareILb0ELb0EiNS0_19identity_decomposerEEEEEvT0_T1_T2_T3_T4_SL_jT5_PKSL_NS1_7vsmem_tE.num_named_barrier, 0
	.set _ZN7rocprim17ROCPRIM_304000_NS6detail35device_block_merge_mergepath_kernelINS1_37wrapped_merge_sort_block_merge_configINS0_14default_configEiN2at4cuda3cub6detail10OpaqueTypeILi2EEEEEPiSC_PSA_SD_jNS1_19radix_merge_compareILb0ELb0EiNS0_19identity_decomposerEEEEEvT0_T1_T2_T3_T4_SL_jT5_PKSL_NS1_7vsmem_tE.private_seg_size, 0
	.set _ZN7rocprim17ROCPRIM_304000_NS6detail35device_block_merge_mergepath_kernelINS1_37wrapped_merge_sort_block_merge_configINS0_14default_configEiN2at4cuda3cub6detail10OpaqueTypeILi2EEEEEPiSC_PSA_SD_jNS1_19radix_merge_compareILb0ELb0EiNS0_19identity_decomposerEEEEEvT0_T1_T2_T3_T4_SL_jT5_PKSL_NS1_7vsmem_tE.uses_vcc, 1
	.set _ZN7rocprim17ROCPRIM_304000_NS6detail35device_block_merge_mergepath_kernelINS1_37wrapped_merge_sort_block_merge_configINS0_14default_configEiN2at4cuda3cub6detail10OpaqueTypeILi2EEEEEPiSC_PSA_SD_jNS1_19radix_merge_compareILb0ELb0EiNS0_19identity_decomposerEEEEEvT0_T1_T2_T3_T4_SL_jT5_PKSL_NS1_7vsmem_tE.uses_flat_scratch, 0
	.set _ZN7rocprim17ROCPRIM_304000_NS6detail35device_block_merge_mergepath_kernelINS1_37wrapped_merge_sort_block_merge_configINS0_14default_configEiN2at4cuda3cub6detail10OpaqueTypeILi2EEEEEPiSC_PSA_SD_jNS1_19radix_merge_compareILb0ELb0EiNS0_19identity_decomposerEEEEEvT0_T1_T2_T3_T4_SL_jT5_PKSL_NS1_7vsmem_tE.has_dyn_sized_stack, 0
	.set _ZN7rocprim17ROCPRIM_304000_NS6detail35device_block_merge_mergepath_kernelINS1_37wrapped_merge_sort_block_merge_configINS0_14default_configEiN2at4cuda3cub6detail10OpaqueTypeILi2EEEEEPiSC_PSA_SD_jNS1_19radix_merge_compareILb0ELb0EiNS0_19identity_decomposerEEEEEvT0_T1_T2_T3_T4_SL_jT5_PKSL_NS1_7vsmem_tE.has_recursion, 0
	.set _ZN7rocprim17ROCPRIM_304000_NS6detail35device_block_merge_mergepath_kernelINS1_37wrapped_merge_sort_block_merge_configINS0_14default_configEiN2at4cuda3cub6detail10OpaqueTypeILi2EEEEEPiSC_PSA_SD_jNS1_19radix_merge_compareILb0ELb0EiNS0_19identity_decomposerEEEEEvT0_T1_T2_T3_T4_SL_jT5_PKSL_NS1_7vsmem_tE.has_indirect_call, 0
	.section	.AMDGPU.csdata,"",@progbits
; Kernel info:
; codeLenInByte = 2992
; TotalNumSgprs: 37
; NumVgprs: 22
; NumAgprs: 0
; TotalNumVgprs: 22
; ScratchSize: 0
; MemoryBound: 0
; FloatMode: 240
; IeeeMode: 1
; LDSByteSize: 4224 bytes/workgroup (compile time only)
; SGPRBlocks: 4
; VGPRBlocks: 2
; NumSGPRsForWavesPerEU: 37
; NumVGPRsForWavesPerEU: 22
; AccumOffset: 24
; Occupancy: 8
; WaveLimiterHint : 1
; COMPUTE_PGM_RSRC2:SCRATCH_EN: 0
; COMPUTE_PGM_RSRC2:USER_SGPR: 2
; COMPUTE_PGM_RSRC2:TRAP_HANDLER: 0
; COMPUTE_PGM_RSRC2:TGID_X_EN: 1
; COMPUTE_PGM_RSRC2:TGID_Y_EN: 1
; COMPUTE_PGM_RSRC2:TGID_Z_EN: 1
; COMPUTE_PGM_RSRC2:TIDIG_COMP_CNT: 0
; COMPUTE_PGM_RSRC3_GFX90A:ACCUM_OFFSET: 5
; COMPUTE_PGM_RSRC3_GFX90A:TG_SPLIT: 0
	.section	.text._ZN7rocprim17ROCPRIM_304000_NS6detail33device_block_merge_oddeven_kernelINS1_37wrapped_merge_sort_block_merge_configINS0_14default_configEiN2at4cuda3cub6detail10OpaqueTypeILi2EEEEEPiSC_PSA_SD_jNS1_19radix_merge_compareILb0ELb0EiNS0_19identity_decomposerEEEEEvT0_T1_T2_T3_T4_SL_T5_,"axG",@progbits,_ZN7rocprim17ROCPRIM_304000_NS6detail33device_block_merge_oddeven_kernelINS1_37wrapped_merge_sort_block_merge_configINS0_14default_configEiN2at4cuda3cub6detail10OpaqueTypeILi2EEEEEPiSC_PSA_SD_jNS1_19radix_merge_compareILb0ELb0EiNS0_19identity_decomposerEEEEEvT0_T1_T2_T3_T4_SL_T5_,comdat
	.protected	_ZN7rocprim17ROCPRIM_304000_NS6detail33device_block_merge_oddeven_kernelINS1_37wrapped_merge_sort_block_merge_configINS0_14default_configEiN2at4cuda3cub6detail10OpaqueTypeILi2EEEEEPiSC_PSA_SD_jNS1_19radix_merge_compareILb0ELb0EiNS0_19identity_decomposerEEEEEvT0_T1_T2_T3_T4_SL_T5_ ; -- Begin function _ZN7rocprim17ROCPRIM_304000_NS6detail33device_block_merge_oddeven_kernelINS1_37wrapped_merge_sort_block_merge_configINS0_14default_configEiN2at4cuda3cub6detail10OpaqueTypeILi2EEEEEPiSC_PSA_SD_jNS1_19radix_merge_compareILb0ELb0EiNS0_19identity_decomposerEEEEEvT0_T1_T2_T3_T4_SL_T5_
	.globl	_ZN7rocprim17ROCPRIM_304000_NS6detail33device_block_merge_oddeven_kernelINS1_37wrapped_merge_sort_block_merge_configINS0_14default_configEiN2at4cuda3cub6detail10OpaqueTypeILi2EEEEEPiSC_PSA_SD_jNS1_19radix_merge_compareILb0ELb0EiNS0_19identity_decomposerEEEEEvT0_T1_T2_T3_T4_SL_T5_
	.p2align	8
	.type	_ZN7rocprim17ROCPRIM_304000_NS6detail33device_block_merge_oddeven_kernelINS1_37wrapped_merge_sort_block_merge_configINS0_14default_configEiN2at4cuda3cub6detail10OpaqueTypeILi2EEEEEPiSC_PSA_SD_jNS1_19radix_merge_compareILb0ELb0EiNS0_19identity_decomposerEEEEEvT0_T1_T2_T3_T4_SL_T5_,@function
_ZN7rocprim17ROCPRIM_304000_NS6detail33device_block_merge_oddeven_kernelINS1_37wrapped_merge_sort_block_merge_configINS0_14default_configEiN2at4cuda3cub6detail10OpaqueTypeILi2EEEEEPiSC_PSA_SD_jNS1_19radix_merge_compareILb0ELb0EiNS0_19identity_decomposerEEEEEvT0_T1_T2_T3_T4_SL_T5_: ; @_ZN7rocprim17ROCPRIM_304000_NS6detail33device_block_merge_oddeven_kernelINS1_37wrapped_merge_sort_block_merge_configINS0_14default_configEiN2at4cuda3cub6detail10OpaqueTypeILi2EEEEEPiSC_PSA_SD_jNS1_19radix_merge_compareILb0ELb0EiNS0_19identity_decomposerEEEEEvT0_T1_T2_T3_T4_SL_T5_
; %bb.0:
	s_load_dwordx2 s[16:17], s[0:1], 0x20
	s_waitcnt lgkmcnt(0)
	s_lshr_b32 s3, s16, 8
	s_cmp_eq_u32 s2, s3
	s_cselect_b64 s[6:7], -1, 0
	s_cmp_lg_u32 s2, s3
	s_cselect_b64 s[8:9], -1, 0
	s_lshl_b32 s18, s2, 8
	s_sub_i32 s3, s16, s18
	v_cmp_gt_u32_e64 s[4:5], s3, v0
	s_or_b64 s[8:9], s[8:9], s[4:5]
	s_and_saveexec_b64 s[10:11], s[8:9]
	s_cbranch_execz .LBB19_24
; %bb.1:
	s_load_dwordx8 s[8:15], s[0:1], 0x0
	s_mov_b32 s19, 0
	s_lshl_b64 s[0:1], s[18:19], 2
	v_lshlrev_b32_e32 v4, 1, v0
	v_lshlrev_b32_e32 v1, 2, v0
	s_waitcnt lgkmcnt(0)
	s_add_u32 s0, s8, s0
	s_addc_u32 s1, s9, s1
	s_lshl_b64 s[20:21], s[18:19], 1
	s_add_u32 s12, s12, s20
	s_addc_u32 s13, s13, s21
	global_load_ushort v2, v4, s[12:13]
	global_load_dword v3, v1, s[0:1]
	s_lshr_b32 s0, s17, 8
	s_sub_i32 s1, 0, s0
	s_and_b32 s1, s2, s1
	s_and_b32 s0, s1, s0
	s_lshl_b32 s19, s1, 8
	s_sub_i32 s12, 0, s17
	s_cmp_eq_u32 s0, 0
	s_cselect_b64 s[0:1], -1, 0
	s_and_b64 s[2:3], s[0:1], exec
	s_cselect_b32 s12, s17, s12
	s_add_i32 s12, s12, s19
	s_mov_b64 s[2:3], -1
	s_cmp_gt_u32 s16, s12
	v_add_u32_e32 v0, s18, v0
	s_cbranch_scc1 .LBB19_9
; %bb.2:
	s_and_b64 vcc, exec, s[6:7]
	s_cbranch_vccz .LBB19_6
; %bb.3:
	v_cmp_gt_u32_e32 vcc, s16, v0
	s_and_saveexec_b64 s[2:3], vcc
	s_cbranch_execz .LBB19_5
; %bb.4:
	v_mov_b32_e32 v1, 0
	v_lshl_add_u64 v[6:7], v[0:1], 2, s[10:11]
	v_lshl_add_u64 v[4:5], v[0:1], 1, s[14:15]
	s_waitcnt vmcnt(0)
	global_store_dword v[6:7], v3, off
	global_store_short v[4:5], v2, off
.LBB19_5:
	s_or_b64 exec, exec, s[2:3]
	s_mov_b64 s[2:3], 0
.LBB19_6:
	s_andn2_b64 vcc, exec, s[2:3]
	s_cbranch_vccnz .LBB19_8
; %bb.7:
	v_mov_b32_e32 v1, 0
	v_lshl_add_u64 v[4:5], v[0:1], 2, s[10:11]
	v_lshl_add_u64 v[6:7], v[0:1], 1, s[14:15]
	s_waitcnt vmcnt(0)
	global_store_dword v[4:5], v3, off
	global_store_short v[6:7], v2, off
.LBB19_8:
	s_mov_b64 s[2:3], 0
.LBB19_9:
	s_andn2_b64 vcc, exec, s[2:3]
	s_cbranch_vccnz .LBB19_24
; %bb.10:
	s_min_u32 s13, s12, s16
	s_add_i32 s2, s13, s17
	s_min_u32 s16, s2, s16
	s_min_u32 s2, s19, s13
	s_add_i32 s19, s19, s13
	v_subrev_u32_e32 v0, s19, v0
	v_add_u32_e32 v4, s2, v0
	s_andn2_b64 vcc, exec, s[6:7]
	s_mov_b64 s[2:3], -1
	s_cbranch_vccnz .LBB19_18
; %bb.11:
	s_and_saveexec_b64 s[2:3], s[4:5]
	s_cbranch_execz .LBB19_17
; %bb.12:
	s_cmp_ge_u32 s12, s16
	v_mov_b32_e32 v5, s13
	s_cbranch_scc1 .LBB19_16
; %bb.13:
	s_mov_b64 s[4:5], 0
	v_mov_b32_e32 v6, s16
	v_mov_b32_e32 v5, s13
	;; [unrolled: 1-line block ×3, first 2 shown]
.LBB19_14:                              ; =>This Inner Loop Header: Depth=1
	v_add_u32_e32 v0, v5, v6
	v_lshrrev_b32_e32 v0, 1, v0
	v_lshl_add_u64 v[8:9], v[0:1], 2, s[8:9]
	global_load_dword v7, v[8:9], off
	v_add_u32_e32 v8, 1, v0
	s_waitcnt vmcnt(0)
	v_cmp_gt_i32_e32 vcc, v3, v7
	s_nop 1
	v_cndmask_b32_e64 v9, 0, 1, vcc
	v_cmp_le_i32_e32 vcc, v7, v3
	s_nop 1
	v_cndmask_b32_e64 v7, 0, 1, vcc
	v_cndmask_b32_e64 v7, v7, v9, s[0:1]
	v_and_b32_e32 v7, 1, v7
	v_cmp_eq_u32_e32 vcc, 1, v7
	s_nop 1
	v_cndmask_b32_e32 v6, v0, v6, vcc
	v_cndmask_b32_e32 v5, v5, v8, vcc
	v_cmp_ge_u32_e32 vcc, v5, v6
	s_or_b64 s[4:5], vcc, s[4:5]
	s_andn2_b64 exec, exec, s[4:5]
	s_cbranch_execnz .LBB19_14
; %bb.15:
	s_or_b64 exec, exec, s[4:5]
.LBB19_16:
	v_add_u32_e32 v0, v5, v4
	v_mov_b32_e32 v1, 0
	v_lshl_add_u64 v[6:7], v[0:1], 2, s[10:11]
	v_lshl_add_u64 v[0:1], v[0:1], 1, s[14:15]
	s_waitcnt vmcnt(0)
	global_store_dword v[6:7], v3, off
	global_store_short v[0:1], v2, off
.LBB19_17:
	s_or_b64 exec, exec, s[2:3]
	s_mov_b64 s[2:3], 0
.LBB19_18:
	s_andn2_b64 vcc, exec, s[2:3]
	s_cbranch_vccnz .LBB19_24
; %bb.19:
	s_cmp_ge_u32 s12, s16
	v_mov_b32_e32 v5, s13
	s_cbranch_scc1 .LBB19_23
; %bb.20:
	s_mov_b64 s[2:3], 0
	v_mov_b32_e32 v6, s16
	v_mov_b32_e32 v5, s13
	;; [unrolled: 1-line block ×3, first 2 shown]
.LBB19_21:                              ; =>This Inner Loop Header: Depth=1
	v_add_u32_e32 v0, v5, v6
	v_lshrrev_b32_e32 v0, 1, v0
	v_lshl_add_u64 v[8:9], v[0:1], 2, s[8:9]
	global_load_dword v7, v[8:9], off
	v_add_u32_e32 v8, 1, v0
	s_waitcnt vmcnt(0)
	v_cmp_gt_i32_e32 vcc, v3, v7
	s_nop 1
	v_cndmask_b32_e64 v9, 0, 1, vcc
	v_cmp_le_i32_e32 vcc, v7, v3
	s_nop 1
	v_cndmask_b32_e64 v7, 0, 1, vcc
	v_cndmask_b32_e64 v7, v7, v9, s[0:1]
	v_and_b32_e32 v7, 1, v7
	v_cmp_eq_u32_e32 vcc, 1, v7
	s_nop 1
	v_cndmask_b32_e32 v6, v0, v6, vcc
	v_cndmask_b32_e32 v5, v5, v8, vcc
	v_cmp_ge_u32_e32 vcc, v5, v6
	s_or_b64 s[2:3], vcc, s[2:3]
	s_andn2_b64 exec, exec, s[2:3]
	s_cbranch_execnz .LBB19_21
; %bb.22:
	s_or_b64 exec, exec, s[2:3]
.LBB19_23:
	v_add_u32_e32 v0, v5, v4
	v_mov_b32_e32 v1, 0
	v_lshl_add_u64 v[4:5], v[0:1], 2, s[10:11]
	v_lshl_add_u64 v[0:1], v[0:1], 1, s[14:15]
	s_waitcnt vmcnt(0)
	global_store_dword v[4:5], v3, off
	global_store_short v[0:1], v2, off
.LBB19_24:
	s_endpgm
	.section	.rodata,"a",@progbits
	.p2align	6, 0x0
	.amdhsa_kernel _ZN7rocprim17ROCPRIM_304000_NS6detail33device_block_merge_oddeven_kernelINS1_37wrapped_merge_sort_block_merge_configINS0_14default_configEiN2at4cuda3cub6detail10OpaqueTypeILi2EEEEEPiSC_PSA_SD_jNS1_19radix_merge_compareILb0ELb0EiNS0_19identity_decomposerEEEEEvT0_T1_T2_T3_T4_SL_T5_
		.amdhsa_group_segment_fixed_size 0
		.amdhsa_private_segment_fixed_size 0
		.amdhsa_kernarg_size 44
		.amdhsa_user_sgpr_count 2
		.amdhsa_user_sgpr_dispatch_ptr 0
		.amdhsa_user_sgpr_queue_ptr 0
		.amdhsa_user_sgpr_kernarg_segment_ptr 1
		.amdhsa_user_sgpr_dispatch_id 0
		.amdhsa_user_sgpr_kernarg_preload_length 0
		.amdhsa_user_sgpr_kernarg_preload_offset 0
		.amdhsa_user_sgpr_private_segment_size 0
		.amdhsa_uses_dynamic_stack 0
		.amdhsa_enable_private_segment 0
		.amdhsa_system_sgpr_workgroup_id_x 1
		.amdhsa_system_sgpr_workgroup_id_y 0
		.amdhsa_system_sgpr_workgroup_id_z 0
		.amdhsa_system_sgpr_workgroup_info 0
		.amdhsa_system_vgpr_workitem_id 0
		.amdhsa_next_free_vgpr 10
		.amdhsa_next_free_sgpr 22
		.amdhsa_accum_offset 12
		.amdhsa_reserve_vcc 1
		.amdhsa_float_round_mode_32 0
		.amdhsa_float_round_mode_16_64 0
		.amdhsa_float_denorm_mode_32 3
		.amdhsa_float_denorm_mode_16_64 3
		.amdhsa_dx10_clamp 1
		.amdhsa_ieee_mode 1
		.amdhsa_fp16_overflow 0
		.amdhsa_tg_split 0
		.amdhsa_exception_fp_ieee_invalid_op 0
		.amdhsa_exception_fp_denorm_src 0
		.amdhsa_exception_fp_ieee_div_zero 0
		.amdhsa_exception_fp_ieee_overflow 0
		.amdhsa_exception_fp_ieee_underflow 0
		.amdhsa_exception_fp_ieee_inexact 0
		.amdhsa_exception_int_div_zero 0
	.end_amdhsa_kernel
	.section	.text._ZN7rocprim17ROCPRIM_304000_NS6detail33device_block_merge_oddeven_kernelINS1_37wrapped_merge_sort_block_merge_configINS0_14default_configEiN2at4cuda3cub6detail10OpaqueTypeILi2EEEEEPiSC_PSA_SD_jNS1_19radix_merge_compareILb0ELb0EiNS0_19identity_decomposerEEEEEvT0_T1_T2_T3_T4_SL_T5_,"axG",@progbits,_ZN7rocprim17ROCPRIM_304000_NS6detail33device_block_merge_oddeven_kernelINS1_37wrapped_merge_sort_block_merge_configINS0_14default_configEiN2at4cuda3cub6detail10OpaqueTypeILi2EEEEEPiSC_PSA_SD_jNS1_19radix_merge_compareILb0ELb0EiNS0_19identity_decomposerEEEEEvT0_T1_T2_T3_T4_SL_T5_,comdat
.Lfunc_end19:
	.size	_ZN7rocprim17ROCPRIM_304000_NS6detail33device_block_merge_oddeven_kernelINS1_37wrapped_merge_sort_block_merge_configINS0_14default_configEiN2at4cuda3cub6detail10OpaqueTypeILi2EEEEEPiSC_PSA_SD_jNS1_19radix_merge_compareILb0ELb0EiNS0_19identity_decomposerEEEEEvT0_T1_T2_T3_T4_SL_T5_, .Lfunc_end19-_ZN7rocprim17ROCPRIM_304000_NS6detail33device_block_merge_oddeven_kernelINS1_37wrapped_merge_sort_block_merge_configINS0_14default_configEiN2at4cuda3cub6detail10OpaqueTypeILi2EEEEEPiSC_PSA_SD_jNS1_19radix_merge_compareILb0ELb0EiNS0_19identity_decomposerEEEEEvT0_T1_T2_T3_T4_SL_T5_
                                        ; -- End function
	.set _ZN7rocprim17ROCPRIM_304000_NS6detail33device_block_merge_oddeven_kernelINS1_37wrapped_merge_sort_block_merge_configINS0_14default_configEiN2at4cuda3cub6detail10OpaqueTypeILi2EEEEEPiSC_PSA_SD_jNS1_19radix_merge_compareILb0ELb0EiNS0_19identity_decomposerEEEEEvT0_T1_T2_T3_T4_SL_T5_.num_vgpr, 10
	.set _ZN7rocprim17ROCPRIM_304000_NS6detail33device_block_merge_oddeven_kernelINS1_37wrapped_merge_sort_block_merge_configINS0_14default_configEiN2at4cuda3cub6detail10OpaqueTypeILi2EEEEEPiSC_PSA_SD_jNS1_19radix_merge_compareILb0ELb0EiNS0_19identity_decomposerEEEEEvT0_T1_T2_T3_T4_SL_T5_.num_agpr, 0
	.set _ZN7rocprim17ROCPRIM_304000_NS6detail33device_block_merge_oddeven_kernelINS1_37wrapped_merge_sort_block_merge_configINS0_14default_configEiN2at4cuda3cub6detail10OpaqueTypeILi2EEEEEPiSC_PSA_SD_jNS1_19radix_merge_compareILb0ELb0EiNS0_19identity_decomposerEEEEEvT0_T1_T2_T3_T4_SL_T5_.numbered_sgpr, 22
	.set _ZN7rocprim17ROCPRIM_304000_NS6detail33device_block_merge_oddeven_kernelINS1_37wrapped_merge_sort_block_merge_configINS0_14default_configEiN2at4cuda3cub6detail10OpaqueTypeILi2EEEEEPiSC_PSA_SD_jNS1_19radix_merge_compareILb0ELb0EiNS0_19identity_decomposerEEEEEvT0_T1_T2_T3_T4_SL_T5_.num_named_barrier, 0
	.set _ZN7rocprim17ROCPRIM_304000_NS6detail33device_block_merge_oddeven_kernelINS1_37wrapped_merge_sort_block_merge_configINS0_14default_configEiN2at4cuda3cub6detail10OpaqueTypeILi2EEEEEPiSC_PSA_SD_jNS1_19radix_merge_compareILb0ELb0EiNS0_19identity_decomposerEEEEEvT0_T1_T2_T3_T4_SL_T5_.private_seg_size, 0
	.set _ZN7rocprim17ROCPRIM_304000_NS6detail33device_block_merge_oddeven_kernelINS1_37wrapped_merge_sort_block_merge_configINS0_14default_configEiN2at4cuda3cub6detail10OpaqueTypeILi2EEEEEPiSC_PSA_SD_jNS1_19radix_merge_compareILb0ELb0EiNS0_19identity_decomposerEEEEEvT0_T1_T2_T3_T4_SL_T5_.uses_vcc, 1
	.set _ZN7rocprim17ROCPRIM_304000_NS6detail33device_block_merge_oddeven_kernelINS1_37wrapped_merge_sort_block_merge_configINS0_14default_configEiN2at4cuda3cub6detail10OpaqueTypeILi2EEEEEPiSC_PSA_SD_jNS1_19radix_merge_compareILb0ELb0EiNS0_19identity_decomposerEEEEEvT0_T1_T2_T3_T4_SL_T5_.uses_flat_scratch, 0
	.set _ZN7rocprim17ROCPRIM_304000_NS6detail33device_block_merge_oddeven_kernelINS1_37wrapped_merge_sort_block_merge_configINS0_14default_configEiN2at4cuda3cub6detail10OpaqueTypeILi2EEEEEPiSC_PSA_SD_jNS1_19radix_merge_compareILb0ELb0EiNS0_19identity_decomposerEEEEEvT0_T1_T2_T3_T4_SL_T5_.has_dyn_sized_stack, 0
	.set _ZN7rocprim17ROCPRIM_304000_NS6detail33device_block_merge_oddeven_kernelINS1_37wrapped_merge_sort_block_merge_configINS0_14default_configEiN2at4cuda3cub6detail10OpaqueTypeILi2EEEEEPiSC_PSA_SD_jNS1_19radix_merge_compareILb0ELb0EiNS0_19identity_decomposerEEEEEvT0_T1_T2_T3_T4_SL_T5_.has_recursion, 0
	.set _ZN7rocprim17ROCPRIM_304000_NS6detail33device_block_merge_oddeven_kernelINS1_37wrapped_merge_sort_block_merge_configINS0_14default_configEiN2at4cuda3cub6detail10OpaqueTypeILi2EEEEEPiSC_PSA_SD_jNS1_19radix_merge_compareILb0ELb0EiNS0_19identity_decomposerEEEEEvT0_T1_T2_T3_T4_SL_T5_.has_indirect_call, 0
	.section	.AMDGPU.csdata,"",@progbits
; Kernel info:
; codeLenInByte = 748
; TotalNumSgprs: 28
; NumVgprs: 10
; NumAgprs: 0
; TotalNumVgprs: 10
; ScratchSize: 0
; MemoryBound: 0
; FloatMode: 240
; IeeeMode: 1
; LDSByteSize: 0 bytes/workgroup (compile time only)
; SGPRBlocks: 3
; VGPRBlocks: 1
; NumSGPRsForWavesPerEU: 28
; NumVGPRsForWavesPerEU: 10
; AccumOffset: 12
; Occupancy: 8
; WaveLimiterHint : 0
; COMPUTE_PGM_RSRC2:SCRATCH_EN: 0
; COMPUTE_PGM_RSRC2:USER_SGPR: 2
; COMPUTE_PGM_RSRC2:TRAP_HANDLER: 0
; COMPUTE_PGM_RSRC2:TGID_X_EN: 1
; COMPUTE_PGM_RSRC2:TGID_Y_EN: 0
; COMPUTE_PGM_RSRC2:TGID_Z_EN: 0
; COMPUTE_PGM_RSRC2:TIDIG_COMP_CNT: 0
; COMPUTE_PGM_RSRC3_GFX90A:ACCUM_OFFSET: 2
; COMPUTE_PGM_RSRC3_GFX90A:TG_SPLIT: 0
	.section	.text._ZN7rocprim17ROCPRIM_304000_NS6detail45device_block_merge_mergepath_partition_kernelINS1_37wrapped_merge_sort_block_merge_configINS0_14default_configEiN2at4cuda3cub6detail10OpaqueTypeILi2EEEEEPijNS1_19radix_merge_compareILb0ELb1EiNS0_19identity_decomposerEEEEEvT0_T1_jPSH_T2_SH_,"axG",@progbits,_ZN7rocprim17ROCPRIM_304000_NS6detail45device_block_merge_mergepath_partition_kernelINS1_37wrapped_merge_sort_block_merge_configINS0_14default_configEiN2at4cuda3cub6detail10OpaqueTypeILi2EEEEEPijNS1_19radix_merge_compareILb0ELb1EiNS0_19identity_decomposerEEEEEvT0_T1_jPSH_T2_SH_,comdat
	.protected	_ZN7rocprim17ROCPRIM_304000_NS6detail45device_block_merge_mergepath_partition_kernelINS1_37wrapped_merge_sort_block_merge_configINS0_14default_configEiN2at4cuda3cub6detail10OpaqueTypeILi2EEEEEPijNS1_19radix_merge_compareILb0ELb1EiNS0_19identity_decomposerEEEEEvT0_T1_jPSH_T2_SH_ ; -- Begin function _ZN7rocprim17ROCPRIM_304000_NS6detail45device_block_merge_mergepath_partition_kernelINS1_37wrapped_merge_sort_block_merge_configINS0_14default_configEiN2at4cuda3cub6detail10OpaqueTypeILi2EEEEEPijNS1_19radix_merge_compareILb0ELb1EiNS0_19identity_decomposerEEEEEvT0_T1_jPSH_T2_SH_
	.globl	_ZN7rocprim17ROCPRIM_304000_NS6detail45device_block_merge_mergepath_partition_kernelINS1_37wrapped_merge_sort_block_merge_configINS0_14default_configEiN2at4cuda3cub6detail10OpaqueTypeILi2EEEEEPijNS1_19radix_merge_compareILb0ELb1EiNS0_19identity_decomposerEEEEEvT0_T1_jPSH_T2_SH_
	.p2align	8
	.type	_ZN7rocprim17ROCPRIM_304000_NS6detail45device_block_merge_mergepath_partition_kernelINS1_37wrapped_merge_sort_block_merge_configINS0_14default_configEiN2at4cuda3cub6detail10OpaqueTypeILi2EEEEEPijNS1_19radix_merge_compareILb0ELb1EiNS0_19identity_decomposerEEEEEvT0_T1_jPSH_T2_SH_,@function
_ZN7rocprim17ROCPRIM_304000_NS6detail45device_block_merge_mergepath_partition_kernelINS1_37wrapped_merge_sort_block_merge_configINS0_14default_configEiN2at4cuda3cub6detail10OpaqueTypeILi2EEEEEPijNS1_19radix_merge_compareILb0ELb1EiNS0_19identity_decomposerEEEEEvT0_T1_jPSH_T2_SH_: ; @_ZN7rocprim17ROCPRIM_304000_NS6detail45device_block_merge_mergepath_partition_kernelINS1_37wrapped_merge_sort_block_merge_configINS0_14default_configEiN2at4cuda3cub6detail10OpaqueTypeILi2EEEEEPijNS1_19radix_merge_compareILb0ELb1EiNS0_19identity_decomposerEEEEEvT0_T1_jPSH_T2_SH_
; %bb.0:
	s_load_dwordx2 s[4:5], s[0:1], 0x8
	v_lshl_or_b32 v0, s2, 7, v0
	s_waitcnt lgkmcnt(0)
	v_cmp_gt_u32_e32 vcc, s5, v0
	s_and_saveexec_b64 s[2:3], vcc
	s_cbranch_execz .LBB20_6
; %bb.1:
	s_load_dwordx2 s[2:3], s[0:1], 0x18
	s_waitcnt lgkmcnt(0)
	s_lshr_b32 s5, s3, 9
	s_and_b32 s5, s5, 0x7ffffe
	s_add_i32 s6, s5, -1
	s_sub_i32 s5, 0, s5
	v_and_b32_e32 v1, s5, v0
	v_and_b32_e32 v2, s6, v0
	v_lshlrev_b32_e32 v1, 10, v1
	v_lshlrev_b32_e32 v3, 10, v2
	v_min_u32_e32 v2, s4, v1
	v_add_u32_e32 v1, s3, v1
	v_min_u32_e32 v4, s4, v1
	v_add_u32_e32 v1, s3, v4
	v_min_u32_e32 v1, s4, v1
	v_sub_u32_e32 v5, v1, v2
	v_min_u32_e32 v10, v5, v3
	v_sub_u32_e32 v3, v4, v2
	v_sub_u32_e32 v1, v1, v4
	v_sub_u32_e64 v1, v10, v1 clamp
	v_min_u32_e32 v11, v10, v3
	v_cmp_lt_u32_e32 vcc, v1, v11
	s_and_saveexec_b64 s[4:5], vcc
	s_cbranch_execz .LBB20_5
; %bb.2:
	s_load_dwordx2 s[6:7], s[0:1], 0x0
	v_mov_b32_e32 v5, 0
	v_mov_b32_e32 v3, v5
	s_waitcnt lgkmcnt(0)
	v_lshl_add_u64 v[6:7], v[2:3], 2, s[6:7]
	v_lshl_add_u64 v[8:9], v[4:5], 2, s[6:7]
	s_mov_b64 s[6:7], 0
.LBB20_3:                               ; =>This Inner Loop Header: Depth=1
	v_add_u32_e32 v3, v11, v1
	v_lshrrev_b32_e32 v4, 1, v3
	v_mov_b32_e32 v13, v5
	v_xad_u32 v12, v4, -1, v10
	v_lshl_add_u64 v[14:15], v[4:5], 2, v[6:7]
	v_lshl_add_u64 v[12:13], v[12:13], 2, v[8:9]
	global_load_dword v3, v[14:15], off
	global_load_dword v16, v[12:13], off
	v_add_u32_e32 v12, 1, v4
	s_waitcnt vmcnt(1)
	v_and_b32_e32 v3, s2, v3
	s_waitcnt vmcnt(0)
	v_and_b32_e32 v13, s2, v16
	v_cmp_gt_i32_e32 vcc, v3, v13
	s_nop 1
	v_cndmask_b32_e32 v11, v11, v4, vcc
	v_cndmask_b32_e32 v1, v12, v1, vcc
	v_cmp_ge_u32_e32 vcc, v1, v11
	s_or_b64 s[6:7], vcc, s[6:7]
	s_andn2_b64 exec, exec, s[6:7]
	s_cbranch_execnz .LBB20_3
; %bb.4:
	s_or_b64 exec, exec, s[6:7]
.LBB20_5:
	s_or_b64 exec, exec, s[4:5]
	s_load_dwordx2 s[0:1], s[0:1], 0x10
	v_add_u32_e32 v2, v1, v2
	v_mov_b32_e32 v1, 0
	s_waitcnt lgkmcnt(0)
	v_lshl_add_u64 v[0:1], v[0:1], 2, s[0:1]
	global_store_dword v[0:1], v2, off
.LBB20_6:
	s_endpgm
	.section	.rodata,"a",@progbits
	.p2align	6, 0x0
	.amdhsa_kernel _ZN7rocprim17ROCPRIM_304000_NS6detail45device_block_merge_mergepath_partition_kernelINS1_37wrapped_merge_sort_block_merge_configINS0_14default_configEiN2at4cuda3cub6detail10OpaqueTypeILi2EEEEEPijNS1_19radix_merge_compareILb0ELb1EiNS0_19identity_decomposerEEEEEvT0_T1_jPSH_T2_SH_
		.amdhsa_group_segment_fixed_size 0
		.amdhsa_private_segment_fixed_size 0
		.amdhsa_kernarg_size 32
		.amdhsa_user_sgpr_count 2
		.amdhsa_user_sgpr_dispatch_ptr 0
		.amdhsa_user_sgpr_queue_ptr 0
		.amdhsa_user_sgpr_kernarg_segment_ptr 1
		.amdhsa_user_sgpr_dispatch_id 0
		.amdhsa_user_sgpr_kernarg_preload_length 0
		.amdhsa_user_sgpr_kernarg_preload_offset 0
		.amdhsa_user_sgpr_private_segment_size 0
		.amdhsa_uses_dynamic_stack 0
		.amdhsa_enable_private_segment 0
		.amdhsa_system_sgpr_workgroup_id_x 1
		.amdhsa_system_sgpr_workgroup_id_y 0
		.amdhsa_system_sgpr_workgroup_id_z 0
		.amdhsa_system_sgpr_workgroup_info 0
		.amdhsa_system_vgpr_workitem_id 0
		.amdhsa_next_free_vgpr 17
		.amdhsa_next_free_sgpr 8
		.amdhsa_accum_offset 20
		.amdhsa_reserve_vcc 1
		.amdhsa_float_round_mode_32 0
		.amdhsa_float_round_mode_16_64 0
		.amdhsa_float_denorm_mode_32 3
		.amdhsa_float_denorm_mode_16_64 3
		.amdhsa_dx10_clamp 1
		.amdhsa_ieee_mode 1
		.amdhsa_fp16_overflow 0
		.amdhsa_tg_split 0
		.amdhsa_exception_fp_ieee_invalid_op 0
		.amdhsa_exception_fp_denorm_src 0
		.amdhsa_exception_fp_ieee_div_zero 0
		.amdhsa_exception_fp_ieee_overflow 0
		.amdhsa_exception_fp_ieee_underflow 0
		.amdhsa_exception_fp_ieee_inexact 0
		.amdhsa_exception_int_div_zero 0
	.end_amdhsa_kernel
	.section	.text._ZN7rocprim17ROCPRIM_304000_NS6detail45device_block_merge_mergepath_partition_kernelINS1_37wrapped_merge_sort_block_merge_configINS0_14default_configEiN2at4cuda3cub6detail10OpaqueTypeILi2EEEEEPijNS1_19radix_merge_compareILb0ELb1EiNS0_19identity_decomposerEEEEEvT0_T1_jPSH_T2_SH_,"axG",@progbits,_ZN7rocprim17ROCPRIM_304000_NS6detail45device_block_merge_mergepath_partition_kernelINS1_37wrapped_merge_sort_block_merge_configINS0_14default_configEiN2at4cuda3cub6detail10OpaqueTypeILi2EEEEEPijNS1_19radix_merge_compareILb0ELb1EiNS0_19identity_decomposerEEEEEvT0_T1_jPSH_T2_SH_,comdat
.Lfunc_end20:
	.size	_ZN7rocprim17ROCPRIM_304000_NS6detail45device_block_merge_mergepath_partition_kernelINS1_37wrapped_merge_sort_block_merge_configINS0_14default_configEiN2at4cuda3cub6detail10OpaqueTypeILi2EEEEEPijNS1_19radix_merge_compareILb0ELb1EiNS0_19identity_decomposerEEEEEvT0_T1_jPSH_T2_SH_, .Lfunc_end20-_ZN7rocprim17ROCPRIM_304000_NS6detail45device_block_merge_mergepath_partition_kernelINS1_37wrapped_merge_sort_block_merge_configINS0_14default_configEiN2at4cuda3cub6detail10OpaqueTypeILi2EEEEEPijNS1_19radix_merge_compareILb0ELb1EiNS0_19identity_decomposerEEEEEvT0_T1_jPSH_T2_SH_
                                        ; -- End function
	.set _ZN7rocprim17ROCPRIM_304000_NS6detail45device_block_merge_mergepath_partition_kernelINS1_37wrapped_merge_sort_block_merge_configINS0_14default_configEiN2at4cuda3cub6detail10OpaqueTypeILi2EEEEEPijNS1_19radix_merge_compareILb0ELb1EiNS0_19identity_decomposerEEEEEvT0_T1_jPSH_T2_SH_.num_vgpr, 17
	.set _ZN7rocprim17ROCPRIM_304000_NS6detail45device_block_merge_mergepath_partition_kernelINS1_37wrapped_merge_sort_block_merge_configINS0_14default_configEiN2at4cuda3cub6detail10OpaqueTypeILi2EEEEEPijNS1_19radix_merge_compareILb0ELb1EiNS0_19identity_decomposerEEEEEvT0_T1_jPSH_T2_SH_.num_agpr, 0
	.set _ZN7rocprim17ROCPRIM_304000_NS6detail45device_block_merge_mergepath_partition_kernelINS1_37wrapped_merge_sort_block_merge_configINS0_14default_configEiN2at4cuda3cub6detail10OpaqueTypeILi2EEEEEPijNS1_19radix_merge_compareILb0ELb1EiNS0_19identity_decomposerEEEEEvT0_T1_jPSH_T2_SH_.numbered_sgpr, 8
	.set _ZN7rocprim17ROCPRIM_304000_NS6detail45device_block_merge_mergepath_partition_kernelINS1_37wrapped_merge_sort_block_merge_configINS0_14default_configEiN2at4cuda3cub6detail10OpaqueTypeILi2EEEEEPijNS1_19radix_merge_compareILb0ELb1EiNS0_19identity_decomposerEEEEEvT0_T1_jPSH_T2_SH_.num_named_barrier, 0
	.set _ZN7rocprim17ROCPRIM_304000_NS6detail45device_block_merge_mergepath_partition_kernelINS1_37wrapped_merge_sort_block_merge_configINS0_14default_configEiN2at4cuda3cub6detail10OpaqueTypeILi2EEEEEPijNS1_19radix_merge_compareILb0ELb1EiNS0_19identity_decomposerEEEEEvT0_T1_jPSH_T2_SH_.private_seg_size, 0
	.set _ZN7rocprim17ROCPRIM_304000_NS6detail45device_block_merge_mergepath_partition_kernelINS1_37wrapped_merge_sort_block_merge_configINS0_14default_configEiN2at4cuda3cub6detail10OpaqueTypeILi2EEEEEPijNS1_19radix_merge_compareILb0ELb1EiNS0_19identity_decomposerEEEEEvT0_T1_jPSH_T2_SH_.uses_vcc, 1
	.set _ZN7rocprim17ROCPRIM_304000_NS6detail45device_block_merge_mergepath_partition_kernelINS1_37wrapped_merge_sort_block_merge_configINS0_14default_configEiN2at4cuda3cub6detail10OpaqueTypeILi2EEEEEPijNS1_19radix_merge_compareILb0ELb1EiNS0_19identity_decomposerEEEEEvT0_T1_jPSH_T2_SH_.uses_flat_scratch, 0
	.set _ZN7rocprim17ROCPRIM_304000_NS6detail45device_block_merge_mergepath_partition_kernelINS1_37wrapped_merge_sort_block_merge_configINS0_14default_configEiN2at4cuda3cub6detail10OpaqueTypeILi2EEEEEPijNS1_19radix_merge_compareILb0ELb1EiNS0_19identity_decomposerEEEEEvT0_T1_jPSH_T2_SH_.has_dyn_sized_stack, 0
	.set _ZN7rocprim17ROCPRIM_304000_NS6detail45device_block_merge_mergepath_partition_kernelINS1_37wrapped_merge_sort_block_merge_configINS0_14default_configEiN2at4cuda3cub6detail10OpaqueTypeILi2EEEEEPijNS1_19radix_merge_compareILb0ELb1EiNS0_19identity_decomposerEEEEEvT0_T1_jPSH_T2_SH_.has_recursion, 0
	.set _ZN7rocprim17ROCPRIM_304000_NS6detail45device_block_merge_mergepath_partition_kernelINS1_37wrapped_merge_sort_block_merge_configINS0_14default_configEiN2at4cuda3cub6detail10OpaqueTypeILi2EEEEEPijNS1_19radix_merge_compareILb0ELb1EiNS0_19identity_decomposerEEEEEvT0_T1_jPSH_T2_SH_.has_indirect_call, 0
	.section	.AMDGPU.csdata,"",@progbits
; Kernel info:
; codeLenInByte = 332
; TotalNumSgprs: 14
; NumVgprs: 17
; NumAgprs: 0
; TotalNumVgprs: 17
; ScratchSize: 0
; MemoryBound: 0
; FloatMode: 240
; IeeeMode: 1
; LDSByteSize: 0 bytes/workgroup (compile time only)
; SGPRBlocks: 1
; VGPRBlocks: 2
; NumSGPRsForWavesPerEU: 14
; NumVGPRsForWavesPerEU: 17
; AccumOffset: 20
; Occupancy: 8
; WaveLimiterHint : 0
; COMPUTE_PGM_RSRC2:SCRATCH_EN: 0
; COMPUTE_PGM_RSRC2:USER_SGPR: 2
; COMPUTE_PGM_RSRC2:TRAP_HANDLER: 0
; COMPUTE_PGM_RSRC2:TGID_X_EN: 1
; COMPUTE_PGM_RSRC2:TGID_Y_EN: 0
; COMPUTE_PGM_RSRC2:TGID_Z_EN: 0
; COMPUTE_PGM_RSRC2:TIDIG_COMP_CNT: 0
; COMPUTE_PGM_RSRC3_GFX90A:ACCUM_OFFSET: 4
; COMPUTE_PGM_RSRC3_GFX90A:TG_SPLIT: 0
	.section	.text._ZN7rocprim17ROCPRIM_304000_NS6detail35device_block_merge_mergepath_kernelINS1_37wrapped_merge_sort_block_merge_configINS0_14default_configEiN2at4cuda3cub6detail10OpaqueTypeILi2EEEEEPiSC_PSA_SD_jNS1_19radix_merge_compareILb0ELb1EiNS0_19identity_decomposerEEEEEvT0_T1_T2_T3_T4_SL_jT5_PKSL_NS1_7vsmem_tE,"axG",@progbits,_ZN7rocprim17ROCPRIM_304000_NS6detail35device_block_merge_mergepath_kernelINS1_37wrapped_merge_sort_block_merge_configINS0_14default_configEiN2at4cuda3cub6detail10OpaqueTypeILi2EEEEEPiSC_PSA_SD_jNS1_19radix_merge_compareILb0ELb1EiNS0_19identity_decomposerEEEEEvT0_T1_T2_T3_T4_SL_jT5_PKSL_NS1_7vsmem_tE,comdat
	.protected	_ZN7rocprim17ROCPRIM_304000_NS6detail35device_block_merge_mergepath_kernelINS1_37wrapped_merge_sort_block_merge_configINS0_14default_configEiN2at4cuda3cub6detail10OpaqueTypeILi2EEEEEPiSC_PSA_SD_jNS1_19radix_merge_compareILb0ELb1EiNS0_19identity_decomposerEEEEEvT0_T1_T2_T3_T4_SL_jT5_PKSL_NS1_7vsmem_tE ; -- Begin function _ZN7rocprim17ROCPRIM_304000_NS6detail35device_block_merge_mergepath_kernelINS1_37wrapped_merge_sort_block_merge_configINS0_14default_configEiN2at4cuda3cub6detail10OpaqueTypeILi2EEEEEPiSC_PSA_SD_jNS1_19radix_merge_compareILb0ELb1EiNS0_19identity_decomposerEEEEEvT0_T1_T2_T3_T4_SL_jT5_PKSL_NS1_7vsmem_tE
	.globl	_ZN7rocprim17ROCPRIM_304000_NS6detail35device_block_merge_mergepath_kernelINS1_37wrapped_merge_sort_block_merge_configINS0_14default_configEiN2at4cuda3cub6detail10OpaqueTypeILi2EEEEEPiSC_PSA_SD_jNS1_19radix_merge_compareILb0ELb1EiNS0_19identity_decomposerEEEEEvT0_T1_T2_T3_T4_SL_jT5_PKSL_NS1_7vsmem_tE
	.p2align	8
	.type	_ZN7rocprim17ROCPRIM_304000_NS6detail35device_block_merge_mergepath_kernelINS1_37wrapped_merge_sort_block_merge_configINS0_14default_configEiN2at4cuda3cub6detail10OpaqueTypeILi2EEEEEPiSC_PSA_SD_jNS1_19radix_merge_compareILb0ELb1EiNS0_19identity_decomposerEEEEEvT0_T1_T2_T3_T4_SL_jT5_PKSL_NS1_7vsmem_tE,@function
_ZN7rocprim17ROCPRIM_304000_NS6detail35device_block_merge_mergepath_kernelINS1_37wrapped_merge_sort_block_merge_configINS0_14default_configEiN2at4cuda3cub6detail10OpaqueTypeILi2EEEEEPiSC_PSA_SD_jNS1_19radix_merge_compareILb0ELb1EiNS0_19identity_decomposerEEEEEvT0_T1_T2_T3_T4_SL_jT5_PKSL_NS1_7vsmem_tE: ; @_ZN7rocprim17ROCPRIM_304000_NS6detail35device_block_merge_mergepath_kernelINS1_37wrapped_merge_sort_block_merge_configINS0_14default_configEiN2at4cuda3cub6detail10OpaqueTypeILi2EEEEEPiSC_PSA_SD_jNS1_19radix_merge_compareILb0ELb1EiNS0_19identity_decomposerEEEEEvT0_T1_T2_T3_T4_SL_jT5_PKSL_NS1_7vsmem_tE
; %bb.0:
	s_load_dwordx2 s[28:29], s[0:1], 0x40
	s_load_dwordx4 s[16:19], s[0:1], 0x20
	s_add_u32 s26, s0, 64
	s_addc_u32 s27, s1, 0
	s_waitcnt lgkmcnt(0)
	s_mul_i32 s4, s29, s4
	s_add_i32 s3, s4, s3
	s_mul_i32 s3, s3, s28
	s_add_i32 s6, s3, s2
	s_cmp_ge_u32 s6, s18
	s_cbranch_scc1 .LBB21_69
; %bb.1:
	s_load_dwordx8 s[8:15], s[0:1], 0x0
	s_load_dwordx2 s[4:5], s[0:1], 0x30
	s_lshr_b32 s31, s16, 10
	s_cmp_lg_u32 s6, s31
	s_mov_b32 s7, 0
	s_cselect_b64 s[20:21], -1, 0
	s_lshl_b64 s[0:1], s[6:7], 2
	s_waitcnt lgkmcnt(0)
	s_add_u32 s0, s4, s0
	s_addc_u32 s1, s5, s1
	s_load_dwordx2 s[22:23], s[0:1], 0x0
	s_lshr_b32 s0, s17, 9
	s_and_b32 s0, s0, 0x7ffffe
	s_sub_i32 s0, 0, s0
	s_and_b32 s1, s6, s0
	s_lshl_b32 s3, s1, 10
	s_lshl_b32 s18, s6, 10
	;; [unrolled: 1-line block ×3, first 2 shown]
	s_sub_i32 s4, s18, s3
	s_add_i32 s1, s1, s17
	s_add_i32 s4, s1, s4
	s_waitcnt lgkmcnt(0)
	s_sub_i32 s5, s4, s22
	s_sub_i32 s4, s4, s23
	s_sub_i32 s1, s1, s3
	s_min_u32 s24, s16, s5
	s_addk_i32 s4, 0x400
	s_or_b32 s0, s6, s0
	s_min_u32 s3, s16, s1
	s_add_i32 s1, s1, s17
	s_cmp_eq_u32 s0, -1
	s_cselect_b32 s0, s1, s4
	s_cselect_b32 s1, s3, s23
	s_min_u32 s0, s0, s16
	s_mov_b32 s23, s7
	s_sub_i32 s29, s1, s22
	s_sub_i32 s30, s0, s24
	s_lshl_b64 s[0:1], s[22:23], 2
	s_add_u32 s0, s8, s0
	s_mov_b32 s25, s7
	s_addc_u32 s1, s9, s1
	s_lshl_b64 s[4:5], s[24:25], 2
	s_add_u32 s4, s8, s4
	s_addc_u32 s5, s9, s5
	s_cmp_lt_u32 s2, s28
	v_mov_b32_e32 v7, 0
	s_cselect_b32 s2, 12, 18
	global_load_dword v1, v7, s[26:27] offset:14
	s_add_u32 s2, s26, s2
	s_addc_u32 s3, s27, 0
	global_load_ushort v2, v7, s[2:3]
	v_cmp_gt_u32_e32 vcc, s29, v0
	s_cmp_eq_u32 s6, s31
	v_lshlrev_b32_e32 v6, 2, v0
	s_waitcnt vmcnt(1)
	v_lshrrev_b32_e32 v3, 16, v1
	v_and_b32_e32 v1, 0xffff, v1
	v_mul_lo_u32 v1, v1, v3
	s_waitcnt vmcnt(0)
	v_mul_lo_u32 v1, v1, v2
	v_add_u32_e32 v8, v1, v0
	s_cbranch_scc1 .LBB21_3
; %bb.2:
	v_subrev_u32_e32 v4, s29, v0
	v_lshlrev_b32_e32 v4, 2, v4
	v_mov_b32_e32 v5, v7
	v_lshl_add_u64 v[2:3], s[0:1], 0, v[6:7]
	v_lshl_add_u64 v[4:5], s[4:5], 0, v[4:5]
	v_cndmask_b32_e32 v3, v5, v3, vcc
	v_cndmask_b32_e32 v2, v4, v2, vcc
	v_mov_b32_e32 v9, v7
	v_subrev_co_u32_e32 v10, vcc, s29, v8
	v_mov_b32_e32 v11, v7
	v_lshl_add_u64 v[4:5], v[8:9], 2, s[0:1]
	v_lshl_add_u64 v[10:11], v[10:11], 2, s[4:5]
	v_cndmask_b32_e32 v4, v10, v4, vcc
	v_add_u32_e32 v10, v8, v1
	v_cndmask_b32_e32 v5, v11, v5, vcc
	v_mov_b32_e32 v11, v7
	v_subrev_co_u32_e32 v12, vcc, s29, v10
	v_mov_b32_e32 v13, v7
	global_load_dword v2, v[2:3], off
	v_lshl_add_u64 v[12:13], v[12:13], 2, s[4:5]
	global_load_dword v3, v[4:5], off
	v_lshl_add_u64 v[4:5], v[10:11], 2, s[0:1]
	v_add_u32_e32 v10, v10, v1
	v_cndmask_b32_e32 v5, v13, v5, vcc
	v_cndmask_b32_e32 v4, v12, v4, vcc
	v_lshl_add_u64 v[12:13], v[10:11], 2, s[0:1]
	v_subrev_co_u32_e32 v10, vcc, s29, v10
	v_lshl_add_u64 v[10:11], v[10:11], 2, s[4:5]
	s_nop 0
	v_cndmask_b32_e32 v11, v11, v13, vcc
	v_cndmask_b32_e32 v10, v10, v12, vcc
	global_load_dword v4, v[4:5], off
	s_add_i32 s17, s30, s29
	global_load_dword v5, v[10:11], off
	s_cbranch_execz .LBB21_4
	s_branch .LBB21_13
.LBB21_3:
                                        ; implicit-def: $vgpr2_vgpr3_vgpr4_vgpr5
                                        ; implicit-def: $sgpr17
.LBB21_4:
	s_add_i32 s17, s30, s29
	s_waitcnt vmcnt(3)
	v_mov_b32_e32 v2, 0
	v_cmp_gt_u32_e32 vcc, s17, v0
	s_waitcnt vmcnt(2)
	v_mov_b32_e32 v3, v2
	s_waitcnt vmcnt(1)
	v_mov_b32_e32 v4, v2
	;; [unrolled: 2-line block ×3, first 2 shown]
	s_and_saveexec_b64 s[2:3], vcc
	s_cbranch_execz .LBB21_6
; %bb.5:
	v_subrev_u32_e32 v3, s29, v0
	v_mov_b32_e32 v7, v2
	v_lshlrev_b32_e32 v10, 2, v3
	v_mov_b32_e32 v11, v2
	v_lshl_add_u64 v[4:5], s[0:1], 0, v[6:7]
	v_lshl_add_u64 v[10:11], s[4:5], 0, v[10:11]
	v_cmp_gt_u32_e32 vcc, s29, v0
	v_mov_b32_e32 v12, v2
	v_mov_b32_e32 v13, v2
	v_cndmask_b32_e32 v5, v11, v5, vcc
	v_cndmask_b32_e32 v4, v10, v4, vcc
	global_load_dword v10, v[4:5], off
	v_mov_b32_e32 v11, v2
	s_waitcnt vmcnt(0)
	v_mov_b64_e32 v[2:3], v[10:11]
	v_mov_b64_e32 v[4:5], v[12:13]
.LBB21_6:
	s_or_b64 exec, exec, s[2:3]
	v_cmp_gt_u32_e32 vcc, s17, v8
	s_and_saveexec_b64 s[2:3], vcc
	s_cbranch_execz .LBB21_8
; %bb.7:
	v_mov_b32_e32 v9, 0
	v_subrev_co_u32_e32 v12, vcc, s29, v8
	v_mov_b32_e32 v13, v9
	v_lshl_add_u64 v[10:11], v[8:9], 2, s[0:1]
	v_lshl_add_u64 v[12:13], v[12:13], 2, s[4:5]
	v_cndmask_b32_e32 v11, v13, v11, vcc
	v_cndmask_b32_e32 v10, v12, v10, vcc
	global_load_dword v3, v[10:11], off
.LBB21_8:
	s_or_b64 exec, exec, s[2:3]
	v_add_u32_e32 v8, v8, v1
	v_cmp_gt_u32_e32 vcc, s17, v8
	s_and_saveexec_b64 s[2:3], vcc
	s_cbranch_execz .LBB21_10
; %bb.9:
	v_mov_b32_e32 v9, 0
	v_subrev_co_u32_e32 v12, vcc, s29, v8
	v_mov_b32_e32 v13, v9
	v_lshl_add_u64 v[10:11], v[8:9], 2, s[0:1]
	v_lshl_add_u64 v[12:13], v[12:13], 2, s[4:5]
	v_cndmask_b32_e32 v11, v13, v11, vcc
	v_cndmask_b32_e32 v10, v12, v10, vcc
	global_load_dword v4, v[10:11], off
.LBB21_10:
	s_or_b64 exec, exec, s[2:3]
	v_add_u32_e32 v8, v8, v1
	v_cmp_gt_u32_e32 vcc, s17, v8
	s_and_saveexec_b64 s[2:3], vcc
	s_cbranch_execz .LBB21_12
; %bb.11:
	v_mov_b32_e32 v9, 0
	v_lshl_add_u64 v[10:11], v[8:9], 2, s[0:1]
	v_subrev_co_u32_e32 v8, vcc, s29, v8
	v_lshl_add_u64 v[8:9], v[8:9], 2, s[4:5]
	s_nop 0
	v_cndmask_b32_e32 v9, v9, v11, vcc
	v_cndmask_b32_e32 v8, v8, v10, vcc
	global_load_dword v5, v[8:9], off
.LBB21_12:
	s_or_b64 exec, exec, s[2:3]
.LBB21_13:
	v_min_u32_e32 v1, s17, v6
	v_sub_u32_e64 v8, v1, s30 clamp
	v_min_u32_e32 v7, s29, v1
	v_cmp_lt_u32_e32 vcc, v8, v7
	s_waitcnt vmcnt(0)
	ds_write2st64_b32 v6, v2, v3 offset1:4
	ds_write2st64_b32 v6, v4, v5 offset0:8 offset1:12
	s_waitcnt lgkmcnt(0)
	s_barrier
	s_and_saveexec_b64 s[0:1], vcc
	s_cbranch_execz .LBB21_17
; %bb.14:
	v_lshlrev_b32_e32 v9, 2, v1
	v_lshl_add_u32 v9, s29, 2, v9
	s_mov_b64 s[2:3], 0
.LBB21_15:                              ; =>This Inner Loop Header: Depth=1
	v_add_u32_e32 v10, v7, v8
	v_lshrrev_b32_e32 v10, 1, v10
	v_not_b32_e32 v11, v10
	v_lshlrev_b32_e32 v12, 2, v10
	v_lshl_add_u32 v11, v11, 2, v9
	ds_read_b32 v12, v12
	ds_read_b32 v11, v11
	v_add_u32_e32 v13, 1, v10
	s_waitcnt lgkmcnt(1)
	v_and_b32_e32 v12, s19, v12
	s_waitcnt lgkmcnt(0)
	v_and_b32_e32 v11, s19, v11
	v_cmp_gt_i32_e32 vcc, v12, v11
	s_nop 1
	v_cndmask_b32_e32 v7, v7, v10, vcc
	v_cndmask_b32_e32 v8, v13, v8, vcc
	v_cmp_ge_u32_e32 vcc, v8, v7
	s_or_b64 s[2:3], vcc, s[2:3]
	s_andn2_b64 exec, exec, s[2:3]
	s_cbranch_execnz .LBB21_15
; %bb.16:
	s_or_b64 exec, exec, s[2:3]
.LBB21_17:
	s_or_b64 exec, exec, s[0:1]
	v_sub_u32_e32 v1, v1, v8
	v_add_u32_e32 v9, s29, v1
	v_cmp_ge_u32_e32 vcc, s29, v8
	v_cmp_ge_u32_e64 s[0:1], s17, v9
	s_or_b64 s[0:1], vcc, s[0:1]
	v_mov_b32_e32 v1, 0
	v_mov_b32_e32 v7, 0
	v_mov_b32_e32 v14, 0
	v_mov_b32_e32 v15, 0
	s_and_saveexec_b64 s[8:9], s[0:1]
	s_cbranch_execz .LBB21_23
; %bb.18:
	v_cmp_gt_u32_e32 vcc, s29, v8
                                        ; implicit-def: $vgpr1
	s_and_saveexec_b64 s[0:1], vcc
; %bb.19:
	v_lshlrev_b32_e32 v1, 2, v8
	ds_read_b32 v1, v1
; %bb.20:
	s_or_b64 exec, exec, s[0:1]
	v_cmp_le_u32_e64 s[0:1], s17, v9
	v_cmp_gt_u32_e64 s[2:3], s17, v9
                                        ; implicit-def: $vgpr2
	s_and_saveexec_b64 s[4:5], s[2:3]
; %bb.21:
	v_lshlrev_b32_e32 v2, 2, v9
	ds_read_b32 v2, v2
; %bb.22:
	s_or_b64 exec, exec, s[4:5]
	s_waitcnt lgkmcnt(0)
	v_and_b32_e32 v3, s19, v2
	v_and_b32_e32 v4, s19, v1
	v_cmp_le_i32_e64 s[2:3], v4, v3
	s_and_b64 s[2:3], vcc, s[2:3]
	s_or_b64 vcc, s[0:1], s[2:3]
	v_mov_b32_e32 v3, s17
	v_mov_b32_e32 v4, s29
	v_cndmask_b32_e32 v15, v9, v8, vcc
	v_cndmask_b32_e32 v5, v3, v4, vcc
	v_add_u32_e32 v7, 1, v15
	v_add_u32_e32 v5, -1, v5
	v_min_u32_e32 v5, v7, v5
	v_lshlrev_b32_e32 v5, 2, v5
	ds_read_b32 v5, v5
	v_cndmask_b32_e32 v9, v7, v9, vcc
	v_cndmask_b32_e32 v7, v8, v7, vcc
	v_cmp_gt_u32_e64 s[2:3], s29, v7
	v_cmp_le_u32_e64 s[0:1], s17, v9
	s_waitcnt lgkmcnt(0)
	v_cndmask_b32_e32 v10, v5, v2, vcc
	v_cndmask_b32_e32 v5, v1, v5, vcc
	v_and_b32_e32 v8, s19, v10
	v_and_b32_e32 v11, s19, v5
	v_cmp_le_i32_e64 s[4:5], v11, v8
	s_and_b64 s[2:3], s[2:3], s[4:5]
	s_or_b64 s[0:1], s[0:1], s[2:3]
	v_cndmask_b32_e64 v14, v9, v7, s[0:1]
	v_cndmask_b32_e64 v8, v3, v4, s[0:1]
	v_add_u32_e32 v11, 1, v14
	v_add_u32_e32 v8, -1, v8
	v_min_u32_e32 v8, v11, v8
	v_lshlrev_b32_e32 v8, 2, v8
	ds_read_b32 v8, v8
	v_cndmask_b32_e64 v9, v11, v9, s[0:1]
	v_cndmask_b32_e64 v11, v7, v11, s[0:1]
	v_cmp_gt_u32_e64 s[4:5], s29, v11
	v_cmp_le_u32_e64 s[2:3], s17, v9
	s_waitcnt lgkmcnt(0)
	v_cndmask_b32_e64 v12, v8, v10, s[0:1]
	v_cndmask_b32_e64 v8, v5, v8, s[0:1]
	v_and_b32_e32 v7, s19, v12
	v_and_b32_e32 v13, s19, v8
	v_cmp_le_i32_e64 s[6:7], v13, v7
	s_and_b64 s[4:5], s[4:5], s[6:7]
	s_or_b64 s[2:3], s[2:3], s[4:5]
	v_cndmask_b32_e64 v7, v9, v11, s[2:3]
	v_cndmask_b32_e64 v3, v3, v4, s[2:3]
	v_add_u32_e32 v13, 1, v7
	v_add_u32_e32 v3, -1, v3
	v_min_u32_e32 v3, v13, v3
	v_lshlrev_b32_e32 v3, 2, v3
	ds_read_b32 v16, v3
	v_cndmask_b32_e64 v3, v10, v5, s[0:1]
	v_cndmask_b32_e64 v4, v12, v8, s[2:3]
	v_cndmask_b32_e32 v2, v2, v1, vcc
	v_cndmask_b32_e64 v1, v13, v9, s[2:3]
	s_waitcnt lgkmcnt(0)
	v_cndmask_b32_e64 v5, v16, v12, s[2:3]
	v_cndmask_b32_e64 v8, v8, v16, s[2:3]
	;; [unrolled: 1-line block ×3, first 2 shown]
	v_and_b32_e32 v10, s19, v5
	v_and_b32_e32 v11, s19, v8
	v_cmp_gt_u32_e64 s[0:1], s29, v9
	v_cmp_le_i32_e64 s[2:3], v11, v10
	v_cmp_le_u32_e32 vcc, s17, v1
	s_and_b64 s[0:1], s[0:1], s[2:3]
	s_or_b64 vcc, vcc, s[0:1]
	v_cndmask_b32_e32 v1, v1, v9, vcc
	v_cndmask_b32_e32 v5, v5, v8, vcc
.LBB21_23:
	s_or_b64 exec, exec, s[8:9]
	s_lshl_b64 s[0:1], s[22:23], 1
	s_add_u32 s8, s12, s0
	s_addc_u32 s9, s13, s1
	s_lshl_b64 s[0:1], s[24:25], 1
	s_add_u32 s6, s12, s0
	v_cndmask_b32_e64 v8, 0, 1, s[20:21]
	v_mov_b32_e32 v9, 0
	s_addc_u32 s7, s13, s1
	v_cmp_gt_u32_e64 s[4:5], s29, v0
	v_cmp_le_u32_e64 s[2:3], s29, v0
	v_cmp_ne_u32_e64 s[0:1], 1, v8
	s_andn2_b64 vcc, exec, s[20:21]
	v_lshlrev_b32_e32 v8, 1, v0
	s_barrier
	s_cbranch_vccnz .LBB21_25
; %bb.24:
	v_subrev_u32_e32 v12, s29, v0
	v_lshlrev_b32_e32 v12, 1, v12
	v_mov_b32_e32 v13, v9
	v_lshl_add_u64 v[10:11], s[8:9], 0, v[8:9]
	v_lshl_add_u64 v[12:13], s[6:7], 0, v[12:13]
	v_cndmask_b32_e64 v11, v13, v11, s[4:5]
	v_cndmask_b32_e64 v10, v12, v10, s[4:5]
	global_load_ushort v16, v[10:11], off
	v_or_b32_e32 v10, 0x100, v0
	v_subrev_u32_e32 v11, s29, v10
	v_min_u32_e32 v12, v10, v11
	v_mov_b32_e32 v17, s7
	v_mov_b32_e32 v18, s9
	v_cmp_gt_u32_e32 vcc, s29, v10
	v_mov_b32_e32 v19, s6
	v_mov_b32_e32 v20, s8
	v_cndmask_b32_e32 v11, v17, v18, vcc
	v_cndmask_b32_e32 v10, v19, v20, vcc
	v_lshlrev_b32_e32 v12, 1, v12
	v_mov_b32_e32 v13, v9
	v_lshl_add_u64 v[10:11], v[10:11], 0, v[12:13]
	global_load_ushort v21, v[10:11], off
	v_or_b32_e32 v10, 0x200, v0
	v_subrev_u32_e32 v11, s29, v10
	v_min_u32_e32 v12, v10, v11
	v_cmp_gt_u32_e32 vcc, s29, v10
	v_lshlrev_b32_e32 v12, 1, v12
	v_or_b32_e32 v9, 0x300, v0
	v_cndmask_b32_e32 v11, v17, v18, vcc
	v_cndmask_b32_e32 v10, v19, v20, vcc
	v_lshl_add_u64 v[10:11], v[10:11], 0, v[12:13]
	global_load_ushort v13, v[10:11], off
	v_subrev_u32_e32 v10, s29, v9
	v_cmp_gt_u32_e32 vcc, s29, v9
	v_min_u32_e32 v12, v9, v10
	s_nop 0
	v_cndmask_b32_e32 v11, v17, v18, vcc
	v_cndmask_b32_e32 v10, v19, v20, vcc
	s_mov_b64 s[4:5], -1
	s_waitcnt vmcnt(2)
	ds_write_b16 v8, v16
	s_waitcnt vmcnt(1)
	ds_write_b16 v8, v21 offset:512
	s_waitcnt vmcnt(0)
	ds_write_b16 v8, v13 offset:1024
	s_cbranch_execz .LBB21_26
	s_branch .LBB21_43
.LBB21_25:
	s_mov_b64 s[4:5], 0
                                        ; implicit-def: $vgpr9
                                        ; implicit-def: $vgpr10_vgpr11
                                        ; implicit-def: $vgpr12
.LBB21_26:
	s_and_saveexec_b64 s[4:5], s[2:3]
	s_xor_b64 s[2:3], exec, s[4:5]
	s_cbranch_execz .LBB21_30
; %bb.27:
	v_subrev_u32_e32 v9, s29, v0
	v_cmp_gt_u32_e32 vcc, s30, v9
	s_and_saveexec_b64 s[4:5], vcc
	s_cbranch_execz .LBB21_29
; %bb.28:
	v_lshlrev_b32_e32 v9, 1, v9
	global_load_ushort v9, v9, s[6:7]
	v_sub_u32_e32 v10, v6, v8
	s_waitcnt vmcnt(0)
	ds_write_b16 v10, v9
.LBB21_29:
	s_or_b64 exec, exec, s[4:5]
.LBB21_30:
	s_andn2_saveexec_b64 s[2:3], s[2:3]
	s_cbranch_execz .LBB21_32
; %bb.31:
	global_load_ushort v9, v8, s[8:9]
	v_sub_u32_e32 v10, v6, v8
	s_waitcnt vmcnt(0)
	ds_write_b16 v10, v9
.LBB21_32:
	s_or_b64 exec, exec, s[2:3]
	v_or_b32_e32 v9, 0x100, v0
	v_cmp_le_u32_e32 vcc, s29, v9
	s_mov_b64 s[2:3], -1
	v_mov_b64_e32 v[10:11], s[22:23]
	s_and_saveexec_b64 s[4:5], vcc
; %bb.33:
	v_subrev_u32_e32 v9, s29, v9
	v_cmp_gt_u32_e32 vcc, s30, v9
	v_mov_b64_e32 v[10:11], s[24:25]
	s_orn2_b64 s[2:3], vcc, exec
; %bb.34:
	s_or_b64 exec, exec, s[4:5]
	s_and_saveexec_b64 s[4:5], s[2:3]
	s_cbranch_execz .LBB21_36
; %bb.35:
	v_lshl_add_u64 v[10:11], v[10:11], 1, s[12:13]
	v_lshlrev_b32_e32 v12, 1, v9
	v_mov_b32_e32 v13, 0
	v_lshl_add_u64 v[10:11], v[10:11], 0, v[12:13]
	global_load_ushort v9, v[10:11], off
	v_sub_u32_e32 v10, v6, v8
	s_waitcnt vmcnt(0)
	ds_write_b16 v10, v9 offset:512
.LBB21_36:
	s_or_b64 exec, exec, s[4:5]
	v_or_b32_e32 v9, 0x200, v0
	v_cmp_le_u32_e32 vcc, s29, v9
	s_mov_b64 s[2:3], -1
	v_mov_b64_e32 v[10:11], s[22:23]
	s_and_saveexec_b64 s[4:5], vcc
; %bb.37:
	v_subrev_u32_e32 v9, s29, v9
	v_cmp_gt_u32_e32 vcc, s30, v9
	v_mov_b64_e32 v[10:11], s[24:25]
	s_orn2_b64 s[2:3], vcc, exec
; %bb.38:
	s_or_b64 exec, exec, s[4:5]
	s_and_saveexec_b64 s[4:5], s[2:3]
	s_cbranch_execz .LBB21_40
; %bb.39:
	v_lshl_add_u64 v[10:11], v[10:11], 1, s[12:13]
	v_lshlrev_b32_e32 v12, 1, v9
	v_mov_b32_e32 v13, 0
	v_lshl_add_u64 v[10:11], v[10:11], 0, v[12:13]
	global_load_ushort v9, v[10:11], off
	v_sub_u32_e32 v8, v6, v8
	s_waitcnt vmcnt(0)
	ds_write_b16 v8, v9 offset:1024
.LBB21_40:
	s_or_b64 exec, exec, s[4:5]
	v_or_b32_e32 v9, 0x300, v0
	v_cmp_le_u32_e32 vcc, s29, v9
	s_mov_b64 s[4:5], -1
	v_mov_b64_e32 v[10:11], s[8:9]
	v_mov_b32_e32 v12, v9
	s_and_saveexec_b64 s[2:3], vcc
; %bb.41:
	v_subrev_u32_e32 v12, s29, v9
	v_cmp_gt_u32_e32 vcc, s30, v12
	v_mov_b64_e32 v[10:11], s[6:7]
	s_orn2_b64 s[4:5], vcc, exec
; %bb.42:
	s_or_b64 exec, exec, s[2:3]
.LBB21_43:
	s_and_saveexec_b64 s[2:3], s[4:5]
	s_cbranch_execz .LBB21_45
; %bb.44:
	v_mov_b32_e32 v13, 0
	v_lshl_add_u64 v[10:11], v[12:13], 1, v[10:11]
	global_load_ushort v8, v[10:11], off
	v_lshlrev_b32_e32 v9, 1, v9
	s_waitcnt vmcnt(0)
	ds_write_b16 v9, v8
.LBB21_45:
	s_or_b64 exec, exec, s[2:3]
	s_and_b64 vcc, exec, s[0:1]
	v_add_u32_e32 v8, s18, v6
	s_waitcnt lgkmcnt(0)
	s_barrier
	s_cbranch_vccnz .LBB21_47
; %bb.46:
	v_lshlrev_b32_e32 v9, 1, v15
	v_lshlrev_b32_e32 v10, 1, v14
	;; [unrolled: 1-line block ×3, first 2 shown]
	ds_read_u16 v12, v9
	ds_read_u16 v13, v10
	;; [unrolled: 1-line block ×3, first 2 shown]
	v_mov_b32_e32 v9, 0
	s_mov_b32 s0, 0x5040100
	v_lshl_add_u64 v[10:11], v[8:9], 1, s[14:15]
	s_waitcnt lgkmcnt(1)
	v_perm_b32 v12, v13, v12, s0
	s_mov_b64 s[0:1], -1
	s_waitcnt lgkmcnt(0)
	global_store_short v[10:11], v16, off offset:4
	global_store_dword v[10:11], v12, off
	s_cbranch_execz .LBB21_48
	s_branch .LBB21_57
.LBB21_47:
	s_mov_b64 s[0:1], 0
.LBB21_48:
	v_cmp_gt_u32_e32 vcc, s17, v6
	s_and_saveexec_b64 s[2:3], vcc
	s_cbranch_execz .LBB21_50
; %bb.49:
	v_lshlrev_b32_e32 v9, 1, v15
	ds_read_u16 v12, v9
	v_mov_b32_e32 v9, 0
	v_lshl_add_u64 v[10:11], v[8:9], 1, s[14:15]
	s_waitcnt lgkmcnt(0)
	global_store_short v[10:11], v12, off
.LBB21_50:
	s_or_b64 exec, exec, s[2:3]
	v_or_b32_e32 v9, 1, v6
	v_cmp_gt_u32_e32 vcc, s17, v9
	s_and_saveexec_b64 s[2:3], vcc
	s_cbranch_execz .LBB21_52
; %bb.51:
	v_lshlrev_b32_e32 v9, 1, v14
	ds_read_u16 v12, v9
	v_mov_b32_e32 v9, 0
	v_lshl_add_u64 v[10:11], v[8:9], 1, s[14:15]
	s_waitcnt lgkmcnt(0)
	global_store_short v[10:11], v12, off offset:2
.LBB21_52:
	s_or_b64 exec, exec, s[2:3]
	v_or_b32_e32 v9, 2, v6
	v_cmp_gt_u32_e32 vcc, s17, v9
	s_and_saveexec_b64 s[2:3], vcc
	s_cbranch_execz .LBB21_54
; %bb.53:
	v_lshlrev_b32_e32 v7, 1, v7
	ds_read_u16 v7, v7
	v_mov_b32_e32 v9, 0
	v_lshl_add_u64 v[10:11], v[8:9], 1, s[14:15]
	s_waitcnt lgkmcnt(0)
	global_store_short v[10:11], v7, off offset:4
.LBB21_54:
	s_or_b64 exec, exec, s[2:3]
	v_or_b32_e32 v7, 3, v6
	v_cmp_gt_u32_e32 vcc, s17, v7
	s_and_saveexec_b64 s[2:3], vcc
; %bb.55:
	v_mov_b32_e32 v9, 0
	s_or_b64 s[0:1], s[0:1], exec
; %bb.56:
	s_or_b64 exec, exec, s[2:3]
.LBB21_57:
	s_and_saveexec_b64 s[2:3], s[0:1]
	s_cbranch_execz .LBB21_59
; %bb.58:
	v_lshlrev_b32_e32 v1, 1, v1
	ds_read_u16 v1, v1
	v_lshl_add_u64 v[8:9], v[8:9], 1, s[14:15]
	s_waitcnt lgkmcnt(0)
	global_store_short v[8:9], v1, off offset:6
.LBB21_59:
	s_or_b64 exec, exec, s[2:3]
	v_lshrrev_b32_e32 v1, 3, v0
	v_lshlrev_b32_e32 v7, 2, v6
	v_lshl_add_u32 v7, v1, 2, v7
	s_barrier
	s_barrier
	ds_write2_b32 v7, v2, v3 offset1:1
	ds_write2_b32 v7, v4, v5 offset0:2 offset1:3
	v_and_b32_e32 v1, 28, v1
	v_or_b32_e32 v5, 0x100, v0
	v_add_u32_e32 v8, v1, v6
	v_lshrrev_b32_e32 v1, 3, v5
	v_and_b32_e32 v1, 60, v1
	v_or_b32_e32 v4, 0x200, v0
	v_add_u32_e32 v9, v1, v6
	v_lshrrev_b32_e32 v1, 3, v4
	s_mov_b32 s19, 0
	v_and_b32_e32 v1, 0x5c, v1
	s_lshl_b64 s[0:1], s[18:19], 2
	v_add_u32_e32 v10, v1, v6
	v_or_b32_e32 v1, 0x300, v0
	s_add_u32 s0, s10, s0
	v_lshrrev_b32_e32 v2, 3, v1
	s_addc_u32 s1, s11, s1
	v_and_b32_e32 v2, 0x7c, v2
	v_mov_b32_e32 v7, 0
	v_add_u32_e32 v11, v2, v6
	v_lshl_add_u64 v[2:3], s[0:1], 0, v[6:7]
	s_and_b64 vcc, exec, s[20:21]
	s_waitcnt lgkmcnt(0)
	s_cbranch_vccz .LBB21_61
; %bb.60:
	s_barrier
	ds_read_b32 v6, v8
	ds_read_b32 v7, v9 offset:1024
	ds_read_b32 v13, v10 offset:2048
	;; [unrolled: 1-line block ×3, first 2 shown]
	s_waitcnt lgkmcnt(3)
	global_store_dword v[2:3], v6, off
	s_waitcnt lgkmcnt(2)
	global_store_dword v[2:3], v7, off offset:1024
	s_waitcnt lgkmcnt(1)
	global_store_dword v[2:3], v13, off offset:2048
	s_mov_b64 s[0:1], -1
	s_cbranch_execz .LBB21_62
	s_branch .LBB21_67
.LBB21_61:
	s_mov_b64 s[0:1], 0
                                        ; implicit-def: $vgpr12
.LBB21_62:
	s_barrier
	s_waitcnt lgkmcnt(0)
	ds_read_b32 v7, v9 offset:1024
	ds_read_b32 v6, v10 offset:2048
	;; [unrolled: 1-line block ×3, first 2 shown]
	s_sub_i32 s2, s16, s18
	v_cmp_gt_u32_e32 vcc, s2, v0
	s_and_saveexec_b64 s[0:1], vcc
	s_cbranch_execnz .LBB21_70
; %bb.63:
	s_or_b64 exec, exec, s[0:1]
	v_cmp_gt_u32_e32 vcc, s2, v5
	s_and_saveexec_b64 s[0:1], vcc
	s_cbranch_execnz .LBB21_71
.LBB21_64:
	s_or_b64 exec, exec, s[0:1]
	v_cmp_gt_u32_e32 vcc, s2, v4
	s_and_saveexec_b64 s[0:1], vcc
	s_cbranch_execz .LBB21_66
.LBB21_65:
	s_waitcnt lgkmcnt(1)
	global_store_dword v[2:3], v6, off offset:2048
.LBB21_66:
	s_or_b64 exec, exec, s[0:1]
	v_cmp_gt_u32_e64 s[0:1], s2, v1
.LBB21_67:
	s_and_saveexec_b64 s[2:3], s[0:1]
	s_cbranch_execz .LBB21_69
; %bb.68:
	s_waitcnt lgkmcnt(0)
	global_store_dword v[2:3], v12, off offset:3072
.LBB21_69:
	s_endpgm
.LBB21_70:
	ds_read_b32 v0, v8
	s_waitcnt lgkmcnt(0)
	global_store_dword v[2:3], v0, off
	s_or_b64 exec, exec, s[0:1]
	v_cmp_gt_u32_e32 vcc, s2, v5
	s_and_saveexec_b64 s[0:1], vcc
	s_cbranch_execz .LBB21_64
.LBB21_71:
	s_waitcnt lgkmcnt(2)
	global_store_dword v[2:3], v7, off offset:1024
	s_or_b64 exec, exec, s[0:1]
	v_cmp_gt_u32_e32 vcc, s2, v4
	s_and_saveexec_b64 s[0:1], vcc
	s_cbranch_execnz .LBB21_65
	s_branch .LBB21_66
	.section	.rodata,"a",@progbits
	.p2align	6, 0x0
	.amdhsa_kernel _ZN7rocprim17ROCPRIM_304000_NS6detail35device_block_merge_mergepath_kernelINS1_37wrapped_merge_sort_block_merge_configINS0_14default_configEiN2at4cuda3cub6detail10OpaqueTypeILi2EEEEEPiSC_PSA_SD_jNS1_19radix_merge_compareILb0ELb1EiNS0_19identity_decomposerEEEEEvT0_T1_T2_T3_T4_SL_jT5_PKSL_NS1_7vsmem_tE
		.amdhsa_group_segment_fixed_size 4224
		.amdhsa_private_segment_fixed_size 0
		.amdhsa_kernarg_size 320
		.amdhsa_user_sgpr_count 2
		.amdhsa_user_sgpr_dispatch_ptr 0
		.amdhsa_user_sgpr_queue_ptr 0
		.amdhsa_user_sgpr_kernarg_segment_ptr 1
		.amdhsa_user_sgpr_dispatch_id 0
		.amdhsa_user_sgpr_kernarg_preload_length 0
		.amdhsa_user_sgpr_kernarg_preload_offset 0
		.amdhsa_user_sgpr_private_segment_size 0
		.amdhsa_uses_dynamic_stack 0
		.amdhsa_enable_private_segment 0
		.amdhsa_system_sgpr_workgroup_id_x 1
		.amdhsa_system_sgpr_workgroup_id_y 1
		.amdhsa_system_sgpr_workgroup_id_z 1
		.amdhsa_system_sgpr_workgroup_info 0
		.amdhsa_system_vgpr_workitem_id 0
		.amdhsa_next_free_vgpr 22
		.amdhsa_next_free_sgpr 32
		.amdhsa_accum_offset 24
		.amdhsa_reserve_vcc 1
		.amdhsa_float_round_mode_32 0
		.amdhsa_float_round_mode_16_64 0
		.amdhsa_float_denorm_mode_32 3
		.amdhsa_float_denorm_mode_16_64 3
		.amdhsa_dx10_clamp 1
		.amdhsa_ieee_mode 1
		.amdhsa_fp16_overflow 0
		.amdhsa_tg_split 0
		.amdhsa_exception_fp_ieee_invalid_op 0
		.amdhsa_exception_fp_denorm_src 0
		.amdhsa_exception_fp_ieee_div_zero 0
		.amdhsa_exception_fp_ieee_overflow 0
		.amdhsa_exception_fp_ieee_underflow 0
		.amdhsa_exception_fp_ieee_inexact 0
		.amdhsa_exception_int_div_zero 0
	.end_amdhsa_kernel
	.section	.text._ZN7rocprim17ROCPRIM_304000_NS6detail35device_block_merge_mergepath_kernelINS1_37wrapped_merge_sort_block_merge_configINS0_14default_configEiN2at4cuda3cub6detail10OpaqueTypeILi2EEEEEPiSC_PSA_SD_jNS1_19radix_merge_compareILb0ELb1EiNS0_19identity_decomposerEEEEEvT0_T1_T2_T3_T4_SL_jT5_PKSL_NS1_7vsmem_tE,"axG",@progbits,_ZN7rocprim17ROCPRIM_304000_NS6detail35device_block_merge_mergepath_kernelINS1_37wrapped_merge_sort_block_merge_configINS0_14default_configEiN2at4cuda3cub6detail10OpaqueTypeILi2EEEEEPiSC_PSA_SD_jNS1_19radix_merge_compareILb0ELb1EiNS0_19identity_decomposerEEEEEvT0_T1_T2_T3_T4_SL_jT5_PKSL_NS1_7vsmem_tE,comdat
.Lfunc_end21:
	.size	_ZN7rocprim17ROCPRIM_304000_NS6detail35device_block_merge_mergepath_kernelINS1_37wrapped_merge_sort_block_merge_configINS0_14default_configEiN2at4cuda3cub6detail10OpaqueTypeILi2EEEEEPiSC_PSA_SD_jNS1_19radix_merge_compareILb0ELb1EiNS0_19identity_decomposerEEEEEvT0_T1_T2_T3_T4_SL_jT5_PKSL_NS1_7vsmem_tE, .Lfunc_end21-_ZN7rocprim17ROCPRIM_304000_NS6detail35device_block_merge_mergepath_kernelINS1_37wrapped_merge_sort_block_merge_configINS0_14default_configEiN2at4cuda3cub6detail10OpaqueTypeILi2EEEEEPiSC_PSA_SD_jNS1_19radix_merge_compareILb0ELb1EiNS0_19identity_decomposerEEEEEvT0_T1_T2_T3_T4_SL_jT5_PKSL_NS1_7vsmem_tE
                                        ; -- End function
	.set _ZN7rocprim17ROCPRIM_304000_NS6detail35device_block_merge_mergepath_kernelINS1_37wrapped_merge_sort_block_merge_configINS0_14default_configEiN2at4cuda3cub6detail10OpaqueTypeILi2EEEEEPiSC_PSA_SD_jNS1_19radix_merge_compareILb0ELb1EiNS0_19identity_decomposerEEEEEvT0_T1_T2_T3_T4_SL_jT5_PKSL_NS1_7vsmem_tE.num_vgpr, 22
	.set _ZN7rocprim17ROCPRIM_304000_NS6detail35device_block_merge_mergepath_kernelINS1_37wrapped_merge_sort_block_merge_configINS0_14default_configEiN2at4cuda3cub6detail10OpaqueTypeILi2EEEEEPiSC_PSA_SD_jNS1_19radix_merge_compareILb0ELb1EiNS0_19identity_decomposerEEEEEvT0_T1_T2_T3_T4_SL_jT5_PKSL_NS1_7vsmem_tE.num_agpr, 0
	.set _ZN7rocprim17ROCPRIM_304000_NS6detail35device_block_merge_mergepath_kernelINS1_37wrapped_merge_sort_block_merge_configINS0_14default_configEiN2at4cuda3cub6detail10OpaqueTypeILi2EEEEEPiSC_PSA_SD_jNS1_19radix_merge_compareILb0ELb1EiNS0_19identity_decomposerEEEEEvT0_T1_T2_T3_T4_SL_jT5_PKSL_NS1_7vsmem_tE.numbered_sgpr, 32
	.set _ZN7rocprim17ROCPRIM_304000_NS6detail35device_block_merge_mergepath_kernelINS1_37wrapped_merge_sort_block_merge_configINS0_14default_configEiN2at4cuda3cub6detail10OpaqueTypeILi2EEEEEPiSC_PSA_SD_jNS1_19radix_merge_compareILb0ELb1EiNS0_19identity_decomposerEEEEEvT0_T1_T2_T3_T4_SL_jT5_PKSL_NS1_7vsmem_tE.num_named_barrier, 0
	.set _ZN7rocprim17ROCPRIM_304000_NS6detail35device_block_merge_mergepath_kernelINS1_37wrapped_merge_sort_block_merge_configINS0_14default_configEiN2at4cuda3cub6detail10OpaqueTypeILi2EEEEEPiSC_PSA_SD_jNS1_19radix_merge_compareILb0ELb1EiNS0_19identity_decomposerEEEEEvT0_T1_T2_T3_T4_SL_jT5_PKSL_NS1_7vsmem_tE.private_seg_size, 0
	.set _ZN7rocprim17ROCPRIM_304000_NS6detail35device_block_merge_mergepath_kernelINS1_37wrapped_merge_sort_block_merge_configINS0_14default_configEiN2at4cuda3cub6detail10OpaqueTypeILi2EEEEEPiSC_PSA_SD_jNS1_19radix_merge_compareILb0ELb1EiNS0_19identity_decomposerEEEEEvT0_T1_T2_T3_T4_SL_jT5_PKSL_NS1_7vsmem_tE.uses_vcc, 1
	.set _ZN7rocprim17ROCPRIM_304000_NS6detail35device_block_merge_mergepath_kernelINS1_37wrapped_merge_sort_block_merge_configINS0_14default_configEiN2at4cuda3cub6detail10OpaqueTypeILi2EEEEEPiSC_PSA_SD_jNS1_19radix_merge_compareILb0ELb1EiNS0_19identity_decomposerEEEEEvT0_T1_T2_T3_T4_SL_jT5_PKSL_NS1_7vsmem_tE.uses_flat_scratch, 0
	.set _ZN7rocprim17ROCPRIM_304000_NS6detail35device_block_merge_mergepath_kernelINS1_37wrapped_merge_sort_block_merge_configINS0_14default_configEiN2at4cuda3cub6detail10OpaqueTypeILi2EEEEEPiSC_PSA_SD_jNS1_19radix_merge_compareILb0ELb1EiNS0_19identity_decomposerEEEEEvT0_T1_T2_T3_T4_SL_jT5_PKSL_NS1_7vsmem_tE.has_dyn_sized_stack, 0
	.set _ZN7rocprim17ROCPRIM_304000_NS6detail35device_block_merge_mergepath_kernelINS1_37wrapped_merge_sort_block_merge_configINS0_14default_configEiN2at4cuda3cub6detail10OpaqueTypeILi2EEEEEPiSC_PSA_SD_jNS1_19radix_merge_compareILb0ELb1EiNS0_19identity_decomposerEEEEEvT0_T1_T2_T3_T4_SL_jT5_PKSL_NS1_7vsmem_tE.has_recursion, 0
	.set _ZN7rocprim17ROCPRIM_304000_NS6detail35device_block_merge_mergepath_kernelINS1_37wrapped_merge_sort_block_merge_configINS0_14default_configEiN2at4cuda3cub6detail10OpaqueTypeILi2EEEEEPiSC_PSA_SD_jNS1_19radix_merge_compareILb0ELb1EiNS0_19identity_decomposerEEEEEvT0_T1_T2_T3_T4_SL_jT5_PKSL_NS1_7vsmem_tE.has_indirect_call, 0
	.section	.AMDGPU.csdata,"",@progbits
; Kernel info:
; codeLenInByte = 3036
; TotalNumSgprs: 38
; NumVgprs: 22
; NumAgprs: 0
; TotalNumVgprs: 22
; ScratchSize: 0
; MemoryBound: 0
; FloatMode: 240
; IeeeMode: 1
; LDSByteSize: 4224 bytes/workgroup (compile time only)
; SGPRBlocks: 4
; VGPRBlocks: 2
; NumSGPRsForWavesPerEU: 38
; NumVGPRsForWavesPerEU: 22
; AccumOffset: 24
; Occupancy: 8
; WaveLimiterHint : 1
; COMPUTE_PGM_RSRC2:SCRATCH_EN: 0
; COMPUTE_PGM_RSRC2:USER_SGPR: 2
; COMPUTE_PGM_RSRC2:TRAP_HANDLER: 0
; COMPUTE_PGM_RSRC2:TGID_X_EN: 1
; COMPUTE_PGM_RSRC2:TGID_Y_EN: 1
; COMPUTE_PGM_RSRC2:TGID_Z_EN: 1
; COMPUTE_PGM_RSRC2:TIDIG_COMP_CNT: 0
; COMPUTE_PGM_RSRC3_GFX90A:ACCUM_OFFSET: 5
; COMPUTE_PGM_RSRC3_GFX90A:TG_SPLIT: 0
	.section	.text._ZN7rocprim17ROCPRIM_304000_NS6detail33device_block_merge_oddeven_kernelINS1_37wrapped_merge_sort_block_merge_configINS0_14default_configEiN2at4cuda3cub6detail10OpaqueTypeILi2EEEEEPiSC_PSA_SD_jNS1_19radix_merge_compareILb0ELb1EiNS0_19identity_decomposerEEEEEvT0_T1_T2_T3_T4_SL_T5_,"axG",@progbits,_ZN7rocprim17ROCPRIM_304000_NS6detail33device_block_merge_oddeven_kernelINS1_37wrapped_merge_sort_block_merge_configINS0_14default_configEiN2at4cuda3cub6detail10OpaqueTypeILi2EEEEEPiSC_PSA_SD_jNS1_19radix_merge_compareILb0ELb1EiNS0_19identity_decomposerEEEEEvT0_T1_T2_T3_T4_SL_T5_,comdat
	.protected	_ZN7rocprim17ROCPRIM_304000_NS6detail33device_block_merge_oddeven_kernelINS1_37wrapped_merge_sort_block_merge_configINS0_14default_configEiN2at4cuda3cub6detail10OpaqueTypeILi2EEEEEPiSC_PSA_SD_jNS1_19radix_merge_compareILb0ELb1EiNS0_19identity_decomposerEEEEEvT0_T1_T2_T3_T4_SL_T5_ ; -- Begin function _ZN7rocprim17ROCPRIM_304000_NS6detail33device_block_merge_oddeven_kernelINS1_37wrapped_merge_sort_block_merge_configINS0_14default_configEiN2at4cuda3cub6detail10OpaqueTypeILi2EEEEEPiSC_PSA_SD_jNS1_19radix_merge_compareILb0ELb1EiNS0_19identity_decomposerEEEEEvT0_T1_T2_T3_T4_SL_T5_
	.globl	_ZN7rocprim17ROCPRIM_304000_NS6detail33device_block_merge_oddeven_kernelINS1_37wrapped_merge_sort_block_merge_configINS0_14default_configEiN2at4cuda3cub6detail10OpaqueTypeILi2EEEEEPiSC_PSA_SD_jNS1_19radix_merge_compareILb0ELb1EiNS0_19identity_decomposerEEEEEvT0_T1_T2_T3_T4_SL_T5_
	.p2align	8
	.type	_ZN7rocprim17ROCPRIM_304000_NS6detail33device_block_merge_oddeven_kernelINS1_37wrapped_merge_sort_block_merge_configINS0_14default_configEiN2at4cuda3cub6detail10OpaqueTypeILi2EEEEEPiSC_PSA_SD_jNS1_19radix_merge_compareILb0ELb1EiNS0_19identity_decomposerEEEEEvT0_T1_T2_T3_T4_SL_T5_,@function
_ZN7rocprim17ROCPRIM_304000_NS6detail33device_block_merge_oddeven_kernelINS1_37wrapped_merge_sort_block_merge_configINS0_14default_configEiN2at4cuda3cub6detail10OpaqueTypeILi2EEEEEPiSC_PSA_SD_jNS1_19radix_merge_compareILb0ELb1EiNS0_19identity_decomposerEEEEEvT0_T1_T2_T3_T4_SL_T5_: ; @_ZN7rocprim17ROCPRIM_304000_NS6detail33device_block_merge_oddeven_kernelINS1_37wrapped_merge_sort_block_merge_configINS0_14default_configEiN2at4cuda3cub6detail10OpaqueTypeILi2EEEEEPiSC_PSA_SD_jNS1_19radix_merge_compareILb0ELb1EiNS0_19identity_decomposerEEEEEvT0_T1_T2_T3_T4_SL_T5_
; %bb.0:
	s_load_dwordx4 s[16:19], s[0:1], 0x20
	s_waitcnt lgkmcnt(0)
	s_lshr_b32 s3, s16, 8
	s_cmp_eq_u32 s2, s3
	s_cselect_b64 s[6:7], -1, 0
	s_cmp_lg_u32 s2, s3
	s_cselect_b64 s[8:9], -1, 0
	s_lshl_b32 s20, s2, 8
	s_sub_i32 s3, s16, s20
	v_cmp_gt_u32_e64 s[4:5], s3, v0
	s_or_b64 s[8:9], s[8:9], s[4:5]
	s_and_saveexec_b64 s[10:11], s[8:9]
	s_cbranch_execz .LBB22_24
; %bb.1:
	s_load_dwordx8 s[8:15], s[0:1], 0x0
	s_mov_b32 s21, 0
	s_lshl_b64 s[0:1], s[20:21], 2
	v_lshlrev_b32_e32 v4, 1, v0
	v_lshlrev_b32_e32 v1, 2, v0
	s_waitcnt lgkmcnt(0)
	s_add_u32 s0, s8, s0
	s_addc_u32 s1, s9, s1
	s_lshl_b64 s[22:23], s[20:21], 1
	s_add_u32 s12, s12, s22
	s_addc_u32 s13, s13, s23
	global_load_ushort v2, v4, s[12:13]
	global_load_dword v3, v1, s[0:1]
	s_lshr_b32 s0, s17, 8
	s_sub_i32 s1, 0, s0
	s_and_b32 s1, s2, s1
	s_and_b32 s0, s1, s0
	s_lshl_b32 s19, s1, 8
	s_sub_i32 s12, 0, s17
	s_cmp_eq_u32 s0, 0
	s_cselect_b64 s[0:1], -1, 0
	s_and_b64 s[2:3], s[0:1], exec
	s_cselect_b32 s12, s17, s12
	s_add_i32 s12, s12, s19
	s_mov_b64 s[2:3], -1
	s_cmp_gt_u32 s16, s12
	v_add_u32_e32 v0, s20, v0
	s_cbranch_scc1 .LBB22_9
; %bb.2:
	s_and_b64 vcc, exec, s[6:7]
	s_cbranch_vccz .LBB22_6
; %bb.3:
	v_cmp_gt_u32_e32 vcc, s16, v0
	s_and_saveexec_b64 s[2:3], vcc
	s_cbranch_execz .LBB22_5
; %bb.4:
	v_mov_b32_e32 v1, 0
	v_lshl_add_u64 v[6:7], v[0:1], 2, s[10:11]
	v_lshl_add_u64 v[4:5], v[0:1], 1, s[14:15]
	s_waitcnt vmcnt(0)
	global_store_dword v[6:7], v3, off
	global_store_short v[4:5], v2, off
.LBB22_5:
	s_or_b64 exec, exec, s[2:3]
	s_mov_b64 s[2:3], 0
.LBB22_6:
	s_andn2_b64 vcc, exec, s[2:3]
	s_cbranch_vccnz .LBB22_8
; %bb.7:
	v_mov_b32_e32 v1, 0
	v_lshl_add_u64 v[4:5], v[0:1], 2, s[10:11]
	v_lshl_add_u64 v[6:7], v[0:1], 1, s[14:15]
	s_waitcnt vmcnt(0)
	global_store_dword v[4:5], v3, off
	global_store_short v[6:7], v2, off
.LBB22_8:
	s_mov_b64 s[2:3], 0
.LBB22_9:
	s_andn2_b64 vcc, exec, s[2:3]
	s_cbranch_vccnz .LBB22_24
; %bb.10:
	s_min_u32 s13, s12, s16
	s_add_i32 s2, s13, s17
	s_min_u32 s16, s2, s16
	s_min_u32 s2, s19, s13
	s_add_i32 s19, s19, s13
	v_subrev_u32_e32 v0, s19, v0
	v_add_u32_e32 v4, s2, v0
	s_waitcnt vmcnt(0)
	v_and_b32_e32 v5, s18, v3
	s_mov_b64 s[2:3], -1
	s_and_b64 vcc, exec, s[6:7]
	s_cbranch_vccz .LBB22_18
; %bb.11:
	s_and_saveexec_b64 s[2:3], s[4:5]
	s_cbranch_execz .LBB22_17
; %bb.12:
	s_cmp_ge_u32 s12, s16
	v_mov_b32_e32 v6, s13
	s_cbranch_scc1 .LBB22_16
; %bb.13:
	s_mov_b64 s[4:5], 0
	v_mov_b32_e32 v7, s16
	v_mov_b32_e32 v6, s13
	;; [unrolled: 1-line block ×3, first 2 shown]
.LBB22_14:                              ; =>This Inner Loop Header: Depth=1
	v_add_u32_e32 v0, v6, v7
	v_lshrrev_b32_e32 v0, 1, v0
	v_lshl_add_u64 v[8:9], v[0:1], 2, s[8:9]
	global_load_dword v8, v[8:9], off
	v_add_u32_e32 v9, 1, v0
	s_waitcnt vmcnt(0)
	v_and_b32_e32 v8, s18, v8
	v_cmp_gt_i32_e32 vcc, v5, v8
	s_nop 1
	v_cndmask_b32_e64 v10, 0, 1, vcc
	v_cmp_le_i32_e32 vcc, v8, v5
	s_nop 1
	v_cndmask_b32_e64 v8, 0, 1, vcc
	v_cndmask_b32_e64 v8, v8, v10, s[0:1]
	v_and_b32_e32 v8, 1, v8
	v_cmp_eq_u32_e32 vcc, 1, v8
	s_nop 1
	v_cndmask_b32_e32 v7, v0, v7, vcc
	v_cndmask_b32_e32 v6, v6, v9, vcc
	v_cmp_ge_u32_e32 vcc, v6, v7
	s_or_b64 s[4:5], vcc, s[4:5]
	s_andn2_b64 exec, exec, s[4:5]
	s_cbranch_execnz .LBB22_14
; %bb.15:
	s_or_b64 exec, exec, s[4:5]
.LBB22_16:
	v_add_u32_e32 v0, v6, v4
	v_mov_b32_e32 v1, 0
	v_lshl_add_u64 v[6:7], v[0:1], 2, s[10:11]
	v_lshl_add_u64 v[0:1], v[0:1], 1, s[14:15]
	global_store_dword v[6:7], v3, off
	global_store_short v[0:1], v2, off
.LBB22_17:
	s_or_b64 exec, exec, s[2:3]
	s_mov_b64 s[2:3], 0
.LBB22_18:
	s_andn2_b64 vcc, exec, s[2:3]
	s_cbranch_vccnz .LBB22_24
; %bb.19:
	s_cmp_ge_u32 s12, s16
	v_mov_b32_e32 v6, s13
	s_cbranch_scc1 .LBB22_23
; %bb.20:
	s_mov_b64 s[2:3], 0
	v_mov_b32_e32 v7, s16
	v_mov_b32_e32 v6, s13
	;; [unrolled: 1-line block ×3, first 2 shown]
.LBB22_21:                              ; =>This Inner Loop Header: Depth=1
	v_add_u32_e32 v0, v6, v7
	v_lshrrev_b32_e32 v0, 1, v0
	v_lshl_add_u64 v[8:9], v[0:1], 2, s[8:9]
	global_load_dword v8, v[8:9], off
	v_add_u32_e32 v9, 1, v0
	s_waitcnt vmcnt(0)
	v_and_b32_e32 v8, s18, v8
	v_cmp_gt_i32_e32 vcc, v5, v8
	s_nop 1
	v_cndmask_b32_e64 v10, 0, 1, vcc
	v_cmp_le_i32_e32 vcc, v8, v5
	s_nop 1
	v_cndmask_b32_e64 v8, 0, 1, vcc
	v_cndmask_b32_e64 v8, v8, v10, s[0:1]
	v_and_b32_e32 v8, 1, v8
	v_cmp_eq_u32_e32 vcc, 1, v8
	s_nop 1
	v_cndmask_b32_e32 v7, v0, v7, vcc
	v_cndmask_b32_e32 v6, v6, v9, vcc
	v_cmp_ge_u32_e32 vcc, v6, v7
	s_or_b64 s[2:3], vcc, s[2:3]
	s_andn2_b64 exec, exec, s[2:3]
	s_cbranch_execnz .LBB22_21
; %bb.22:
	s_or_b64 exec, exec, s[2:3]
.LBB22_23:
	v_add_u32_e32 v0, v6, v4
	v_mov_b32_e32 v1, 0
	v_lshl_add_u64 v[4:5], v[0:1], 2, s[10:11]
	v_lshl_add_u64 v[0:1], v[0:1], 1, s[14:15]
	global_store_dword v[4:5], v3, off
	global_store_short v[0:1], v2, off
.LBB22_24:
	s_endpgm
	.section	.rodata,"a",@progbits
	.p2align	6, 0x0
	.amdhsa_kernel _ZN7rocprim17ROCPRIM_304000_NS6detail33device_block_merge_oddeven_kernelINS1_37wrapped_merge_sort_block_merge_configINS0_14default_configEiN2at4cuda3cub6detail10OpaqueTypeILi2EEEEEPiSC_PSA_SD_jNS1_19radix_merge_compareILb0ELb1EiNS0_19identity_decomposerEEEEEvT0_T1_T2_T3_T4_SL_T5_
		.amdhsa_group_segment_fixed_size 0
		.amdhsa_private_segment_fixed_size 0
		.amdhsa_kernarg_size 44
		.amdhsa_user_sgpr_count 2
		.amdhsa_user_sgpr_dispatch_ptr 0
		.amdhsa_user_sgpr_queue_ptr 0
		.amdhsa_user_sgpr_kernarg_segment_ptr 1
		.amdhsa_user_sgpr_dispatch_id 0
		.amdhsa_user_sgpr_kernarg_preload_length 0
		.amdhsa_user_sgpr_kernarg_preload_offset 0
		.amdhsa_user_sgpr_private_segment_size 0
		.amdhsa_uses_dynamic_stack 0
		.amdhsa_enable_private_segment 0
		.amdhsa_system_sgpr_workgroup_id_x 1
		.amdhsa_system_sgpr_workgroup_id_y 0
		.amdhsa_system_sgpr_workgroup_id_z 0
		.amdhsa_system_sgpr_workgroup_info 0
		.amdhsa_system_vgpr_workitem_id 0
		.amdhsa_next_free_vgpr 11
		.amdhsa_next_free_sgpr 24
		.amdhsa_accum_offset 12
		.amdhsa_reserve_vcc 1
		.amdhsa_float_round_mode_32 0
		.amdhsa_float_round_mode_16_64 0
		.amdhsa_float_denorm_mode_32 3
		.amdhsa_float_denorm_mode_16_64 3
		.amdhsa_dx10_clamp 1
		.amdhsa_ieee_mode 1
		.amdhsa_fp16_overflow 0
		.amdhsa_tg_split 0
		.amdhsa_exception_fp_ieee_invalid_op 0
		.amdhsa_exception_fp_denorm_src 0
		.amdhsa_exception_fp_ieee_div_zero 0
		.amdhsa_exception_fp_ieee_overflow 0
		.amdhsa_exception_fp_ieee_underflow 0
		.amdhsa_exception_fp_ieee_inexact 0
		.amdhsa_exception_int_div_zero 0
	.end_amdhsa_kernel
	.section	.text._ZN7rocprim17ROCPRIM_304000_NS6detail33device_block_merge_oddeven_kernelINS1_37wrapped_merge_sort_block_merge_configINS0_14default_configEiN2at4cuda3cub6detail10OpaqueTypeILi2EEEEEPiSC_PSA_SD_jNS1_19radix_merge_compareILb0ELb1EiNS0_19identity_decomposerEEEEEvT0_T1_T2_T3_T4_SL_T5_,"axG",@progbits,_ZN7rocprim17ROCPRIM_304000_NS6detail33device_block_merge_oddeven_kernelINS1_37wrapped_merge_sort_block_merge_configINS0_14default_configEiN2at4cuda3cub6detail10OpaqueTypeILi2EEEEEPiSC_PSA_SD_jNS1_19radix_merge_compareILb0ELb1EiNS0_19identity_decomposerEEEEEvT0_T1_T2_T3_T4_SL_T5_,comdat
.Lfunc_end22:
	.size	_ZN7rocprim17ROCPRIM_304000_NS6detail33device_block_merge_oddeven_kernelINS1_37wrapped_merge_sort_block_merge_configINS0_14default_configEiN2at4cuda3cub6detail10OpaqueTypeILi2EEEEEPiSC_PSA_SD_jNS1_19radix_merge_compareILb0ELb1EiNS0_19identity_decomposerEEEEEvT0_T1_T2_T3_T4_SL_T5_, .Lfunc_end22-_ZN7rocprim17ROCPRIM_304000_NS6detail33device_block_merge_oddeven_kernelINS1_37wrapped_merge_sort_block_merge_configINS0_14default_configEiN2at4cuda3cub6detail10OpaqueTypeILi2EEEEEPiSC_PSA_SD_jNS1_19radix_merge_compareILb0ELb1EiNS0_19identity_decomposerEEEEEvT0_T1_T2_T3_T4_SL_T5_
                                        ; -- End function
	.set _ZN7rocprim17ROCPRIM_304000_NS6detail33device_block_merge_oddeven_kernelINS1_37wrapped_merge_sort_block_merge_configINS0_14default_configEiN2at4cuda3cub6detail10OpaqueTypeILi2EEEEEPiSC_PSA_SD_jNS1_19radix_merge_compareILb0ELb1EiNS0_19identity_decomposerEEEEEvT0_T1_T2_T3_T4_SL_T5_.num_vgpr, 11
	.set _ZN7rocprim17ROCPRIM_304000_NS6detail33device_block_merge_oddeven_kernelINS1_37wrapped_merge_sort_block_merge_configINS0_14default_configEiN2at4cuda3cub6detail10OpaqueTypeILi2EEEEEPiSC_PSA_SD_jNS1_19radix_merge_compareILb0ELb1EiNS0_19identity_decomposerEEEEEvT0_T1_T2_T3_T4_SL_T5_.num_agpr, 0
	.set _ZN7rocprim17ROCPRIM_304000_NS6detail33device_block_merge_oddeven_kernelINS1_37wrapped_merge_sort_block_merge_configINS0_14default_configEiN2at4cuda3cub6detail10OpaqueTypeILi2EEEEEPiSC_PSA_SD_jNS1_19radix_merge_compareILb0ELb1EiNS0_19identity_decomposerEEEEEvT0_T1_T2_T3_T4_SL_T5_.numbered_sgpr, 24
	.set _ZN7rocprim17ROCPRIM_304000_NS6detail33device_block_merge_oddeven_kernelINS1_37wrapped_merge_sort_block_merge_configINS0_14default_configEiN2at4cuda3cub6detail10OpaqueTypeILi2EEEEEPiSC_PSA_SD_jNS1_19radix_merge_compareILb0ELb1EiNS0_19identity_decomposerEEEEEvT0_T1_T2_T3_T4_SL_T5_.num_named_barrier, 0
	.set _ZN7rocprim17ROCPRIM_304000_NS6detail33device_block_merge_oddeven_kernelINS1_37wrapped_merge_sort_block_merge_configINS0_14default_configEiN2at4cuda3cub6detail10OpaqueTypeILi2EEEEEPiSC_PSA_SD_jNS1_19radix_merge_compareILb0ELb1EiNS0_19identity_decomposerEEEEEvT0_T1_T2_T3_T4_SL_T5_.private_seg_size, 0
	.set _ZN7rocprim17ROCPRIM_304000_NS6detail33device_block_merge_oddeven_kernelINS1_37wrapped_merge_sort_block_merge_configINS0_14default_configEiN2at4cuda3cub6detail10OpaqueTypeILi2EEEEEPiSC_PSA_SD_jNS1_19radix_merge_compareILb0ELb1EiNS0_19identity_decomposerEEEEEvT0_T1_T2_T3_T4_SL_T5_.uses_vcc, 1
	.set _ZN7rocprim17ROCPRIM_304000_NS6detail33device_block_merge_oddeven_kernelINS1_37wrapped_merge_sort_block_merge_configINS0_14default_configEiN2at4cuda3cub6detail10OpaqueTypeILi2EEEEEPiSC_PSA_SD_jNS1_19radix_merge_compareILb0ELb1EiNS0_19identity_decomposerEEEEEvT0_T1_T2_T3_T4_SL_T5_.uses_flat_scratch, 0
	.set _ZN7rocprim17ROCPRIM_304000_NS6detail33device_block_merge_oddeven_kernelINS1_37wrapped_merge_sort_block_merge_configINS0_14default_configEiN2at4cuda3cub6detail10OpaqueTypeILi2EEEEEPiSC_PSA_SD_jNS1_19radix_merge_compareILb0ELb1EiNS0_19identity_decomposerEEEEEvT0_T1_T2_T3_T4_SL_T5_.has_dyn_sized_stack, 0
	.set _ZN7rocprim17ROCPRIM_304000_NS6detail33device_block_merge_oddeven_kernelINS1_37wrapped_merge_sort_block_merge_configINS0_14default_configEiN2at4cuda3cub6detail10OpaqueTypeILi2EEEEEPiSC_PSA_SD_jNS1_19radix_merge_compareILb0ELb1EiNS0_19identity_decomposerEEEEEvT0_T1_T2_T3_T4_SL_T5_.has_recursion, 0
	.set _ZN7rocprim17ROCPRIM_304000_NS6detail33device_block_merge_oddeven_kernelINS1_37wrapped_merge_sort_block_merge_configINS0_14default_configEiN2at4cuda3cub6detail10OpaqueTypeILi2EEEEEPiSC_PSA_SD_jNS1_19radix_merge_compareILb0ELb1EiNS0_19identity_decomposerEEEEEvT0_T1_T2_T3_T4_SL_T5_.has_indirect_call, 0
	.section	.AMDGPU.csdata,"",@progbits
; Kernel info:
; codeLenInByte = 756
; TotalNumSgprs: 30
; NumVgprs: 11
; NumAgprs: 0
; TotalNumVgprs: 11
; ScratchSize: 0
; MemoryBound: 0
; FloatMode: 240
; IeeeMode: 1
; LDSByteSize: 0 bytes/workgroup (compile time only)
; SGPRBlocks: 3
; VGPRBlocks: 1
; NumSGPRsForWavesPerEU: 30
; NumVGPRsForWavesPerEU: 11
; AccumOffset: 12
; Occupancy: 8
; WaveLimiterHint : 0
; COMPUTE_PGM_RSRC2:SCRATCH_EN: 0
; COMPUTE_PGM_RSRC2:USER_SGPR: 2
; COMPUTE_PGM_RSRC2:TRAP_HANDLER: 0
; COMPUTE_PGM_RSRC2:TGID_X_EN: 1
; COMPUTE_PGM_RSRC2:TGID_Y_EN: 0
; COMPUTE_PGM_RSRC2:TGID_Z_EN: 0
; COMPUTE_PGM_RSRC2:TIDIG_COMP_CNT: 0
; COMPUTE_PGM_RSRC3_GFX90A:ACCUM_OFFSET: 2
; COMPUTE_PGM_RSRC3_GFX90A:TG_SPLIT: 0
	.section	.text._ZN7rocprim17ROCPRIM_304000_NS6detail26onesweep_histograms_kernelINS1_34wrapped_radix_sort_onesweep_configINS0_14default_configEiN2at4cuda3cub6detail10OpaqueTypeILi2EEEEELb0EPKimNS0_19identity_decomposerEEEvT1_PT2_SG_SG_T3_jj,"axG",@progbits,_ZN7rocprim17ROCPRIM_304000_NS6detail26onesweep_histograms_kernelINS1_34wrapped_radix_sort_onesweep_configINS0_14default_configEiN2at4cuda3cub6detail10OpaqueTypeILi2EEEEELb0EPKimNS0_19identity_decomposerEEEvT1_PT2_SG_SG_T3_jj,comdat
	.protected	_ZN7rocprim17ROCPRIM_304000_NS6detail26onesweep_histograms_kernelINS1_34wrapped_radix_sort_onesweep_configINS0_14default_configEiN2at4cuda3cub6detail10OpaqueTypeILi2EEEEELb0EPKimNS0_19identity_decomposerEEEvT1_PT2_SG_SG_T3_jj ; -- Begin function _ZN7rocprim17ROCPRIM_304000_NS6detail26onesweep_histograms_kernelINS1_34wrapped_radix_sort_onesweep_configINS0_14default_configEiN2at4cuda3cub6detail10OpaqueTypeILi2EEEEELb0EPKimNS0_19identity_decomposerEEEvT1_PT2_SG_SG_T3_jj
	.globl	_ZN7rocprim17ROCPRIM_304000_NS6detail26onesweep_histograms_kernelINS1_34wrapped_radix_sort_onesweep_configINS0_14default_configEiN2at4cuda3cub6detail10OpaqueTypeILi2EEEEELb0EPKimNS0_19identity_decomposerEEEvT1_PT2_SG_SG_T3_jj
	.p2align	8
	.type	_ZN7rocprim17ROCPRIM_304000_NS6detail26onesweep_histograms_kernelINS1_34wrapped_radix_sort_onesweep_configINS0_14default_configEiN2at4cuda3cub6detail10OpaqueTypeILi2EEEEELb0EPKimNS0_19identity_decomposerEEEvT1_PT2_SG_SG_T3_jj,@function
_ZN7rocprim17ROCPRIM_304000_NS6detail26onesweep_histograms_kernelINS1_34wrapped_radix_sort_onesweep_configINS0_14default_configEiN2at4cuda3cub6detail10OpaqueTypeILi2EEEEELb0EPKimNS0_19identity_decomposerEEEvT1_PT2_SG_SG_T3_jj: ; @_ZN7rocprim17ROCPRIM_304000_NS6detail26onesweep_histograms_kernelINS1_34wrapped_radix_sort_onesweep_configINS0_14default_configEiN2at4cuda3cub6detail10OpaqueTypeILi2EEEEELb0EPKimNS0_19identity_decomposerEEEvT1_PT2_SG_SG_T3_jj
; %bb.0:
	s_load_dwordx8 s[36:43], s[0:1], 0x0
	s_load_dwordx2 s[34:35], s[0:1], 0x24
	s_mov_b32 s3, 0
	v_mov_b64_e32 v[2:3], s[2:3]
	s_lshl_b64 s[0:1], s[2:3], 14
	s_waitcnt lgkmcnt(0)
	v_cmp_le_u64_e32 vcc, s[42:43], v[2:3]
	s_add_u32 s36, s36, s0
	s_addc_u32 s37, s37, s1
	s_mov_b64 s[0:1], -1
	v_lshlrev_b32_e32 v2, 2, v0
	s_cbranch_vccz .LBB23_106
; %bb.1:
	s_lshl_b32 s0, s42, 12
	s_sub_i32 s33, s40, s0
	v_lshlrev_b32_e32 v4, 2, v0
	v_mov_b32_e32 v5, 0
	v_lshl_add_u64 v[6:7], s[36:37], 0, v[4:5]
	v_cmp_gt_u32_e64 s[30:31], s33, v0
                                        ; implicit-def: $vgpr20
	s_and_saveexec_b64 s[0:1], s[30:31]
	s_cbranch_execz .LBB23_3
; %bb.2:
	global_load_dword v1, v[6:7], off
	s_waitcnt vmcnt(0)
	v_xor_b32_e32 v20, 0x80000000, v1
.LBB23_3:
	s_or_b64 exec, exec, s[0:1]
	v_or_b32_e32 v1, 0x100, v0
	v_cmp_gt_u32_e64 s[28:29], s33, v1
                                        ; implicit-def: $vgpr19
	s_and_saveexec_b64 s[0:1], s[28:29]
	s_cbranch_execz .LBB23_5
; %bb.4:
	global_load_dword v1, v[6:7], off offset:1024
	s_waitcnt vmcnt(0)
	v_xor_b32_e32 v19, 0x80000000, v1
.LBB23_5:
	s_or_b64 exec, exec, s[0:1]
	v_or_b32_e32 v1, 0x200, v0
	v_cmp_gt_u32_e64 s[26:27], s33, v1
                                        ; implicit-def: $vgpr18
	s_and_saveexec_b64 s[0:1], s[26:27]
	s_cbranch_execz .LBB23_7
; %bb.6:
	global_load_dword v1, v[6:7], off offset:2048
	s_waitcnt vmcnt(0)
	v_xor_b32_e32 v18, 0x80000000, v1
.LBB23_7:
	s_or_b64 exec, exec, s[0:1]
	v_or_b32_e32 v1, 0x300, v0
	v_cmp_gt_u32_e64 s[24:25], s33, v1
                                        ; implicit-def: $vgpr17
	s_and_saveexec_b64 s[0:1], s[24:25]
	s_cbranch_execz .LBB23_9
; %bb.8:
	global_load_dword v1, v[6:7], off offset:3072
	s_waitcnt vmcnt(0)
	v_xor_b32_e32 v17, 0x80000000, v1
.LBB23_9:
	s_or_b64 exec, exec, s[0:1]
	v_or_b32_e32 v1, 0x400, v0
	v_cmp_gt_u32_e64 s[22:23], s33, v1
                                        ; implicit-def: $vgpr16
	s_and_saveexec_b64 s[0:1], s[22:23]
	s_cbranch_execz .LBB23_11
; %bb.10:
	v_add_co_u32_e32 v8, vcc, 0x1000, v6
	s_nop 1
	v_addc_co_u32_e32 v9, vcc, 0, v7, vcc
	global_load_dword v1, v[8:9], off
	s_waitcnt vmcnt(0)
	v_xor_b32_e32 v16, 0x80000000, v1
.LBB23_11:
	s_or_b64 exec, exec, s[0:1]
	v_or_b32_e32 v1, 0x500, v0
	v_cmp_gt_u32_e64 s[20:21], s33, v1
                                        ; implicit-def: $vgpr15
	s_and_saveexec_b64 s[0:1], s[20:21]
	s_cbranch_execz .LBB23_13
; %bb.12:
	v_add_co_u32_e32 v8, vcc, 0x1000, v6
	s_nop 1
	v_addc_co_u32_e32 v9, vcc, 0, v7, vcc
	global_load_dword v1, v[8:9], off offset:1024
	s_waitcnt vmcnt(0)
	v_xor_b32_e32 v15, 0x80000000, v1
.LBB23_13:
	s_or_b64 exec, exec, s[0:1]
	v_or_b32_e32 v1, 0x600, v0
	v_cmp_gt_u32_e64 s[18:19], s33, v1
                                        ; implicit-def: $vgpr14
	s_and_saveexec_b64 s[0:1], s[18:19]
	s_cbranch_execz .LBB23_15
; %bb.14:
	v_add_co_u32_e32 v8, vcc, 0x1000, v6
	s_nop 1
	v_addc_co_u32_e32 v9, vcc, 0, v7, vcc
	global_load_dword v1, v[8:9], off offset:2048
	s_waitcnt vmcnt(0)
	v_xor_b32_e32 v14, 0x80000000, v1
.LBB23_15:
	s_or_b64 exec, exec, s[0:1]
	v_or_b32_e32 v1, 0x700, v0
	v_cmp_gt_u32_e64 s[16:17], s33, v1
                                        ; implicit-def: $vgpr13
	s_and_saveexec_b64 s[0:1], s[16:17]
	s_cbranch_execz .LBB23_17
; %bb.16:
	v_add_co_u32_e32 v8, vcc, 0x1000, v6
	s_nop 1
	v_addc_co_u32_e32 v9, vcc, 0, v7, vcc
	global_load_dword v1, v[8:9], off offset:3072
	s_waitcnt vmcnt(0)
	v_xor_b32_e32 v13, 0x80000000, v1
.LBB23_17:
	s_or_b64 exec, exec, s[0:1]
	v_or_b32_e32 v1, 0x800, v0
	v_cmp_gt_u32_e64 s[14:15], s33, v1
                                        ; implicit-def: $vgpr12
	s_and_saveexec_b64 s[0:1], s[14:15]
	s_cbranch_execz .LBB23_19
; %bb.18:
	v_add_co_u32_e32 v8, vcc, 0x2000, v6
	s_nop 1
	v_addc_co_u32_e32 v9, vcc, 0, v7, vcc
	global_load_dword v1, v[8:9], off
	s_waitcnt vmcnt(0)
	v_xor_b32_e32 v12, 0x80000000, v1
.LBB23_19:
	s_or_b64 exec, exec, s[0:1]
	v_or_b32_e32 v1, 0x900, v0
	v_cmp_gt_u32_e64 s[12:13], s33, v1
                                        ; implicit-def: $vgpr11
	s_and_saveexec_b64 s[0:1], s[12:13]
	s_cbranch_execz .LBB23_21
; %bb.20:
	v_add_co_u32_e32 v8, vcc, 0x2000, v6
	s_nop 1
	v_addc_co_u32_e32 v9, vcc, 0, v7, vcc
	global_load_dword v1, v[8:9], off offset:1024
	s_waitcnt vmcnt(0)
	v_xor_b32_e32 v11, 0x80000000, v1
.LBB23_21:
	s_or_b64 exec, exec, s[0:1]
	v_or_b32_e32 v1, 0xa00, v0
	v_cmp_gt_u32_e64 s[10:11], s33, v1
                                        ; implicit-def: $vgpr10
	s_and_saveexec_b64 s[0:1], s[10:11]
	s_cbranch_execz .LBB23_23
; %bb.22:
	v_add_co_u32_e32 v8, vcc, 0x2000, v6
	s_nop 1
	v_addc_co_u32_e32 v9, vcc, 0, v7, vcc
	global_load_dword v1, v[8:9], off offset:2048
	s_waitcnt vmcnt(0)
	v_xor_b32_e32 v10, 0x80000000, v1
.LBB23_23:
	s_or_b64 exec, exec, s[0:1]
	v_or_b32_e32 v1, 0xb00, v0
	v_cmp_gt_u32_e64 s[8:9], s33, v1
                                        ; implicit-def: $vgpr9
	s_and_saveexec_b64 s[0:1], s[8:9]
	s_cbranch_execz .LBB23_25
; %bb.24:
	v_add_co_u32_e32 v8, vcc, 0x2000, v6
	s_nop 1
	v_addc_co_u32_e32 v9, vcc, 0, v7, vcc
	global_load_dword v1, v[8:9], off offset:3072
	s_waitcnt vmcnt(0)
	v_xor_b32_e32 v9, 0x80000000, v1
.LBB23_25:
	s_or_b64 exec, exec, s[0:1]
	v_or_b32_e32 v1, 0xc00, v0
	v_cmp_gt_u32_e64 s[6:7], s33, v1
                                        ; implicit-def: $vgpr8
	s_and_saveexec_b64 s[0:1], s[6:7]
	s_cbranch_execz .LBB23_27
; %bb.26:
	v_add_co_u32_e32 v22, vcc, 0x3000, v6
	s_nop 1
	v_addc_co_u32_e32 v23, vcc, 0, v7, vcc
	global_load_dword v1, v[22:23], off
	s_waitcnt vmcnt(0)
	v_xor_b32_e32 v8, 0x80000000, v1
.LBB23_27:
	s_or_b64 exec, exec, s[0:1]
	v_or_b32_e32 v1, 0xd00, v0
	v_cmp_gt_u32_e64 s[4:5], s33, v1
                                        ; implicit-def: $vgpr5
	s_and_saveexec_b64 s[0:1], s[4:5]
	s_cbranch_execz .LBB23_29
; %bb.28:
	v_add_co_u32_e32 v22, vcc, 0x3000, v6
	s_nop 1
	v_addc_co_u32_e32 v23, vcc, 0, v7, vcc
	global_load_dword v1, v[22:23], off offset:1024
	s_waitcnt vmcnt(0)
	v_xor_b32_e32 v5, 0x80000000, v1
.LBB23_29:
	s_or_b64 exec, exec, s[0:1]
	v_or_b32_e32 v1, 0xe00, v0
	v_cmp_gt_u32_e64 s[2:3], s33, v1
                                        ; implicit-def: $vgpr3
	s_and_saveexec_b64 s[0:1], s[2:3]
	s_cbranch_execz .LBB23_31
; %bb.30:
	v_add_co_u32_e32 v22, vcc, 0x3000, v6
	s_nop 1
	v_addc_co_u32_e32 v23, vcc, 0, v7, vcc
	global_load_dword v1, v[22:23], off offset:2048
	s_waitcnt vmcnt(0)
	v_xor_b32_e32 v3, 0x80000000, v1
.LBB23_31:
	s_or_b64 exec, exec, s[0:1]
	v_or_b32_e32 v1, 0xf00, v0
	v_cmp_gt_u32_e64 s[0:1], s33, v1
                                        ; implicit-def: $vgpr1
	s_and_saveexec_b64 s[40:41], s[0:1]
	s_cbranch_execz .LBB23_33
; %bb.32:
	v_add_co_u32_e32 v6, vcc, 0x3000, v6
	s_nop 1
	v_addc_co_u32_e32 v7, vcc, 0, v7, vcc
	global_load_dword v1, v[6:7], off offset:3072
	s_waitcnt vmcnt(0)
	v_xor_b32_e32 v1, 0x80000000, v1
.LBB23_33:
	s_or_b64 exec, exec, s[40:41]
	v_or_b32_e32 v6, 0xffffff00, v0
	s_mov_b64 s[40:41], 0
	v_mov_b32_e32 v7, 0
	s_movk_i32 s33, 0xeff
.LBB23_34:                              ; =>This Inner Loop Header: Depth=1
	v_add_u32_e32 v6, 0x100, v6
	v_cmp_lt_u32_e32 vcc, s33, v6
	ds_write_b32 v4, v7
	s_or_b64 s[40:41], vcc, s[40:41]
	v_add_u32_e32 v4, 0x400, v4
	s_andn2_b64 exec, exec, s[40:41]
	s_cbranch_execnz .LBB23_34
; %bb.35:
	s_or_b64 exec, exec, s[40:41]
	s_cmp_gt_u32 s35, s34
	s_cselect_b64 s[40:41], -1, 0
	s_cmp_le_u32 s35, s34
	s_waitcnt lgkmcnt(0)
	s_barrier
	s_cbranch_scc1 .LBB23_100
; %bb.36:
	v_and_b32_e32 v4, 3, v0
	v_lshlrev_b32_e32 v4, 2, v4
	s_sub_i32 s33, s35, s34
	v_mov_b32_e32 v6, 1
	s_mov_b32 s44, s33
	v_mov_b32_e32 v7, v4
	s_mov_b32 s45, s34
	s_branch .LBB23_38
.LBB23_37:                              ;   in Loop: Header=BB23_38 Depth=1
	s_or_b64 exec, exec, s[42:43]
	s_add_i32 s45, s45, 8
	s_add_i32 s44, s44, -8
	s_cmp_lt_u32 s45, s35
	v_add_u32_e32 v7, 0x1000, v7
	s_cbranch_scc0 .LBB23_40
.LBB23_38:                              ; =>This Inner Loop Header: Depth=1
	s_and_saveexec_b64 s[42:43], s[30:31]
	s_cbranch_execz .LBB23_37
; %bb.39:                               ;   in Loop: Header=BB23_38 Depth=1
	s_min_u32 s46, s44, 8
	v_lshrrev_b32_e32 v21, s45, v20
	v_bfe_u32 v21, v21, 0, s46
	v_lshl_add_u32 v21, v21, 4, v7
	ds_add_u32 v21, v6
	s_branch .LBB23_37
.LBB23_40:
	v_mov_b32_e32 v6, 1
	s_mov_b32 s42, s33
	v_mov_b32_e32 v7, v4
	s_mov_b32 s43, s34
	s_branch .LBB23_42
.LBB23_41:                              ;   in Loop: Header=BB23_42 Depth=1
	s_or_b64 exec, exec, s[30:31]
	s_add_i32 s43, s43, 8
	s_add_i32 s42, s42, -8
	s_cmp_lt_u32 s43, s35
	v_add_u32_e32 v7, 0x1000, v7
	s_cbranch_scc0 .LBB23_44
.LBB23_42:                              ; =>This Inner Loop Header: Depth=1
	s_and_saveexec_b64 s[30:31], s[28:29]
	s_cbranch_execz .LBB23_41
; %bb.43:                               ;   in Loop: Header=BB23_42 Depth=1
	s_min_u32 s44, s42, 8
	v_lshrrev_b32_e32 v20, s43, v19
	v_bfe_u32 v20, v20, 0, s44
	v_lshl_add_u32 v20, v20, 4, v7
	ds_add_u32 v20, v6
	s_branch .LBB23_41
.LBB23_44:
	;; [unrolled: 23-line block ×15, first 2 shown]
	v_mov_b32_e32 v3, 1
	s_mov_b32 s4, s34
	s_branch .LBB23_98
.LBB23_97:                              ;   in Loop: Header=BB23_98 Depth=1
	s_or_b64 exec, exec, s[2:3]
	s_add_i32 s4, s4, 8
	s_add_i32 s33, s33, -8
	s_cmp_lt_u32 s4, s35
	v_add_u32_e32 v4, 0x1000, v4
	s_cbranch_scc0 .LBB23_100
.LBB23_98:                              ; =>This Inner Loop Header: Depth=1
	s_and_saveexec_b64 s[2:3], s[0:1]
	s_cbranch_execz .LBB23_97
; %bb.99:                               ;   in Loop: Header=BB23_98 Depth=1
	s_min_u32 s5, s33, 8
	v_lshrrev_b32_e32 v5, s4, v1
	v_bfe_u32 v5, v5, 0, s5
	v_lshl_add_u32 v5, v5, 4, v4
	ds_add_u32 v5, v3
	s_branch .LBB23_97
.LBB23_100:
	s_and_b64 vcc, exec, s[40:41]
	s_waitcnt lgkmcnt(0)
	s_barrier
	s_cbranch_vccz .LBB23_105
; %bb.101:
	s_movk_i32 s0, 0x100
	v_cmp_gt_u32_e32 vcc, s0, v0
	v_lshlrev_b32_e32 v1, 4, v0
	v_mov_b32_e32 v5, 0
	v_mov_b32_e32 v4, v0
	s_mov_b32 s2, s34
	s_branch .LBB23_103
.LBB23_102:                             ;   in Loop: Header=BB23_103 Depth=1
	s_or_b64 exec, exec, s[0:1]
	s_add_i32 s2, s2, 8
	v_add_u32_e32 v4, 0x100, v4
	s_cmp_lt_u32 s2, s35
	v_add_u32_e32 v1, 0x1000, v1
	s_cbranch_scc0 .LBB23_105
.LBB23_103:                             ; =>This Inner Loop Header: Depth=1
	s_and_saveexec_b64 s[0:1], vcc
	s_cbranch_execz .LBB23_102
; %bb.104:                              ;   in Loop: Header=BB23_103 Depth=1
	ds_read2_b32 v[6:7], v1 offset1:1
	ds_read2_b32 v[8:9], v1 offset0:2 offset1:3
	v_lshl_add_u64 v[10:11], v[4:5], 3, s[38:39]
	s_waitcnt lgkmcnt(1)
	v_add_u32_e32 v3, v7, v6
	s_waitcnt lgkmcnt(0)
	v_add3_u32 v6, v3, v8, v9
	v_mov_b32_e32 v7, v5
	global_atomic_add_x2 v[10:11], v[6:7], off
	s_branch .LBB23_102
.LBB23_105:
	s_mov_b64 s[0:1], 0
.LBB23_106:
	s_and_b64 vcc, exec, s[0:1]
	s_cbranch_vccz .LBB23_154
; %bb.107:
	v_mov_b32_e32 v3, 0
	v_lshl_add_u64 v[4:5], s[36:37], 0, v[2:3]
	v_add_co_u32_e32 v16, vcc, 0x1000, v4
	s_cmp_eq_u32 s34, 0
	s_nop 0
	v_addc_co_u32_e32 v17, vcc, 0, v5, vcc
	v_add_co_u32_e32 v18, vcc, 0x2000, v4
	s_cselect_b64 s[0:1], -1, 0
	s_nop 0
	v_addc_co_u32_e32 v19, vcc, 0, v5, vcc
	v_add_co_u32_e32 v20, vcc, 0x3000, v4
	global_load_dword v14, v[16:17], off
	global_load_dword v13, v[16:17], off offset:1024
	global_load_dword v12, v[16:17], off offset:2048
	;; [unrolled: 1-line block ×3, first 2 shown]
	global_load_dword v10, v[18:19], off
	global_load_dword v9, v[18:19], off offset:1024
	global_load_dword v8, v[18:19], off offset:2048
	;; [unrolled: 1-line block ×3, first 2 shown]
	v_addc_co_u32_e32 v21, vcc, 0, v5, vcc
	global_load_dword v18, v2, s[36:37]
	global_load_dword v17, v2, s[36:37] offset:1024
	global_load_dword v16, v2, s[36:37] offset:2048
	;; [unrolled: 1-line block ×3, first 2 shown]
	global_load_dword v6, v[20:21], off
	global_load_dword v5, v[20:21], off offset:1024
	global_load_dword v4, v[20:21], off offset:2048
	;; [unrolled: 1-line block ×3, first 2 shown]
	s_cmp_eq_u32 s35, 32
	s_cselect_b64 s[2:3], -1, 0
	s_and_b64 s[2:3], s[0:1], s[2:3]
	s_mov_b64 s[0:1], -1
	s_and_b64 vcc, exec, s[2:3]
	s_cbranch_vccnz .LBB23_149
; %bb.108:
	v_or_b32_e32 v19, 0xffffff00, v0
	s_mov_b64 s[0:1], 0
	s_movk_i32 s2, 0xeff
.LBB23_109:                             ; =>This Inner Loop Header: Depth=1
	v_add_u32_e32 v19, 0x100, v19
	v_cmp_lt_u32_e32 vcc, s2, v19
	ds_write_b32 v2, v3
	s_or_b64 s[0:1], vcc, s[0:1]
	v_add_u32_e32 v2, 0x400, v2
	s_andn2_b64 exec, exec, s[0:1]
	s_cbranch_execnz .LBB23_109
; %bb.110:
	s_or_b64 exec, exec, s[0:1]
	s_cmp_gt_u32 s35, s34
	s_cselect_b64 s[0:1], -1, 0
	s_cmp_le_u32 s35, s34
	s_waitcnt lgkmcnt(0)
	s_barrier
	s_cbranch_scc1 .LBB23_143
; %bb.111:
	v_and_b32_e32 v2, 3, v0
	v_lshlrev_b32_e32 v2, 2, v2
	s_sub_i32 s2, s35, s34
	s_waitcnt vmcnt(7)
	v_xor_b32_e32 v3, 0x80000000, v18
	v_mov_b32_e32 v19, 1
	s_mov_b32 s3, s2
	v_mov_b32_e32 v20, v2
	s_mov_b32 s4, s34
.LBB23_112:                             ; =>This Inner Loop Header: Depth=1
	s_min_u32 s5, s3, 8
	v_lshrrev_b32_e32 v21, s4, v3
	v_bfe_u32 v21, v21, 0, s5
	v_lshl_add_u32 v21, v21, 4, v20
	ds_add_u32 v21, v19
	s_add_i32 s4, s4, 8
	s_add_i32 s3, s3, -8
	s_cmp_lt_u32 s4, s35
	v_add_u32_e32 v20, 0x1000, v20
	s_cbranch_scc1 .LBB23_112
; %bb.113:
	s_waitcnt vmcnt(6)
	v_xor_b32_e32 v3, 0x80000000, v17
	v_mov_b32_e32 v19, 1
	s_mov_b32 s3, s2
	v_mov_b32_e32 v20, v2
	s_mov_b32 s4, s34
.LBB23_114:                             ; =>This Inner Loop Header: Depth=1
	s_min_u32 s5, s3, 8
	v_lshrrev_b32_e32 v21, s4, v3
	v_bfe_u32 v21, v21, 0, s5
	v_lshl_add_u32 v21, v21, 4, v20
	ds_add_u32 v21, v19
	s_add_i32 s4, s4, 8
	s_add_i32 s3, s3, -8
	s_cmp_lt_u32 s4, s35
	v_add_u32_e32 v20, 0x1000, v20
	s_cbranch_scc1 .LBB23_114
; %bb.115:
	;; [unrolled: 18-line block ×4, first 2 shown]
	v_xor_b32_e32 v3, 0x80000000, v14
	v_mov_b32_e32 v19, 1
	s_mov_b32 s3, s2
	v_mov_b32_e32 v20, v2
	s_mov_b32 s4, s34
.LBB23_120:                             ; =>This Inner Loop Header: Depth=1
	s_min_u32 s5, s3, 8
	v_lshrrev_b32_e32 v21, s4, v3
	v_bfe_u32 v21, v21, 0, s5
	v_lshl_add_u32 v21, v21, 4, v20
	ds_add_u32 v21, v19
	s_add_i32 s4, s4, 8
	s_add_i32 s3, s3, -8
	s_cmp_lt_u32 s4, s35
	v_add_u32_e32 v20, 0x1000, v20
	s_cbranch_scc1 .LBB23_120
; %bb.121:
	v_xor_b32_e32 v3, 0x80000000, v13
	v_mov_b32_e32 v19, 1
	s_mov_b32 s3, s2
	v_mov_b32_e32 v20, v2
	s_mov_b32 s4, s34
.LBB23_122:                             ; =>This Inner Loop Header: Depth=1
	s_min_u32 s5, s3, 8
	v_lshrrev_b32_e32 v21, s4, v3
	v_bfe_u32 v21, v21, 0, s5
	v_lshl_add_u32 v21, v21, 4, v20
	ds_add_u32 v21, v19
	s_add_i32 s4, s4, 8
	s_add_i32 s3, s3, -8
	s_cmp_lt_u32 s4, s35
	v_add_u32_e32 v20, 0x1000, v20
	s_cbranch_scc1 .LBB23_122
; %bb.123:
	;; [unrolled: 17-line block ×8, first 2 shown]
	s_waitcnt vmcnt(3)
	v_xor_b32_e32 v3, 0x80000000, v6
	v_mov_b32_e32 v19, 1
	s_mov_b32 s3, s2
	v_mov_b32_e32 v20, v2
	s_mov_b32 s4, s34
.LBB23_136:                             ; =>This Inner Loop Header: Depth=1
	s_min_u32 s5, s3, 8
	v_lshrrev_b32_e32 v21, s4, v3
	v_bfe_u32 v21, v21, 0, s5
	v_lshl_add_u32 v21, v21, 4, v20
	ds_add_u32 v21, v19
	s_add_i32 s4, s4, 8
	s_add_i32 s3, s3, -8
	s_cmp_lt_u32 s4, s35
	v_add_u32_e32 v20, 0x1000, v20
	s_cbranch_scc1 .LBB23_136
; %bb.137:
	s_waitcnt vmcnt(2)
	v_xor_b32_e32 v3, 0x80000000, v5
	v_mov_b32_e32 v19, 1
	s_mov_b32 s3, s2
	v_mov_b32_e32 v20, v2
	s_mov_b32 s4, s34
.LBB23_138:                             ; =>This Inner Loop Header: Depth=1
	s_min_u32 s5, s3, 8
	v_lshrrev_b32_e32 v21, s4, v3
	v_bfe_u32 v21, v21, 0, s5
	v_lshl_add_u32 v21, v21, 4, v20
	ds_add_u32 v21, v19
	s_add_i32 s4, s4, 8
	s_add_i32 s3, s3, -8
	s_cmp_lt_u32 s4, s35
	v_add_u32_e32 v20, 0x1000, v20
	s_cbranch_scc1 .LBB23_138
; %bb.139:
	;; [unrolled: 18-line block ×3, first 2 shown]
	s_waitcnt vmcnt(0)
	v_xor_b32_e32 v3, 0x80000000, v1
	v_mov_b32_e32 v19, 1
	s_mov_b32 s3, s34
.LBB23_142:                             ; =>This Inner Loop Header: Depth=1
	s_min_u32 s4, s2, 8
	v_lshrrev_b32_e32 v20, s3, v3
	v_bfe_u32 v20, v20, 0, s4
	v_lshl_add_u32 v20, v20, 4, v2
	ds_add_u32 v20, v19
	s_add_i32 s3, s3, 8
	s_add_i32 s2, s2, -8
	s_cmp_lt_u32 s3, s35
	v_add_u32_e32 v2, 0x1000, v2
	s_cbranch_scc1 .LBB23_142
.LBB23_143:
	s_and_b64 vcc, exec, s[0:1]
	s_waitcnt lgkmcnt(0)
	s_barrier
	s_cbranch_vccz .LBB23_148
; %bb.144:
	s_movk_i32 s0, 0x100
	v_cmp_gt_u32_e32 vcc, s0, v0
	v_lshlrev_b32_e32 v19, 4, v0
	v_mov_b32_e32 v3, 0
	v_mov_b32_e32 v2, v0
	s_branch .LBB23_146
.LBB23_145:                             ;   in Loop: Header=BB23_146 Depth=1
	s_or_b64 exec, exec, s[0:1]
	s_add_i32 s34, s34, 8
	v_add_u32_e32 v2, 0x100, v2
	s_cmp_ge_u32 s34, s35
	v_add_u32_e32 v19, 0x1000, v19
	s_cbranch_scc1 .LBB23_148
.LBB23_146:                             ; =>This Inner Loop Header: Depth=1
	s_and_saveexec_b64 s[0:1], vcc
	s_cbranch_execz .LBB23_145
; %bb.147:                              ;   in Loop: Header=BB23_146 Depth=1
	ds_read2_b32 v[20:21], v19 offset1:1
	ds_read2_b32 v[22:23], v19 offset0:2 offset1:3
	v_lshl_add_u64 v[24:25], v[2:3], 3, s[38:39]
	s_waitcnt lgkmcnt(1)
	v_add_u32_e32 v20, v21, v20
	s_waitcnt lgkmcnt(0)
	v_add3_u32 v20, v20, v22, v23
	v_mov_b32_e32 v21, v3
	global_atomic_add_x2 v[24:25], v[20:21], off
	s_branch .LBB23_145
.LBB23_148:
	s_mov_b64 s[0:1], 0
.LBB23_149:
	s_and_b64 vcc, exec, s[0:1]
	s_cbranch_vccz .LBB23_154
; %bb.150:
	v_or_b32_e32 v2, 0xffffff00, v0
	v_lshlrev_b32_e32 v3, 2, v0
	s_mov_b64 s[0:1], 0
	v_mov_b32_e32 v19, 0
	s_movk_i32 s2, 0xeff
.LBB23_151:                             ; =>This Inner Loop Header: Depth=1
	v_add_u32_e32 v2, 0x100, v2
	v_cmp_lt_u32_e32 vcc, s2, v2
	ds_write_b32 v3, v19
	s_or_b64 s[0:1], vcc, s[0:1]
	v_add_u32_e32 v3, 0x400, v3
	s_andn2_b64 exec, exec, s[0:1]
	s_cbranch_execnz .LBB23_151
; %bb.152:
	s_or_b64 exec, exec, s[0:1]
	v_and_b32_e32 v2, 3, v0
	s_waitcnt vmcnt(7)
	v_lshlrev_b32_e32 v3, 4, v18
	v_lshlrev_b32_e32 v2, 2, v2
	s_movk_i32 s0, 0xff0
	v_and_or_b32 v3, v3, s0, v2
	v_mov_b32_e32 v19, 1
	s_waitcnt lgkmcnt(0)
	s_barrier
	ds_add_u32 v3, v19
	v_bfe_u32 v3, v18, 8, 8
	v_lshl_or_b32 v3, v3, 4, v2
	ds_add_u32 v3, v19 offset:4096
	v_bfe_u32 v3, v18, 16, 8
	v_lshl_or_b32 v3, v3, 4, v2
	ds_add_u32 v3, v19 offset:8192
	v_mov_b32_e32 v3, 2
	v_lshlrev_b32_sdwa v18, v3, v18 dst_sel:DWORD dst_unused:UNUSED_PAD src0_sel:DWORD src1_sel:BYTE_3
	v_xor_b32_e32 v18, 0x200, v18
	v_lshl_or_b32 v18, v18, 2, v2
	ds_add_u32 v18, v19 offset:12288
	s_waitcnt vmcnt(6)
	v_lshlrev_b32_e32 v18, 4, v17
	v_and_or_b32 v18, v18, s0, v2
	ds_add_u32 v18, v19
	v_bfe_u32 v18, v17, 8, 8
	v_lshl_or_b32 v18, v18, 4, v2
	ds_add_u32 v18, v19 offset:4096
	v_bfe_u32 v18, v17, 16, 8
	v_lshlrev_b32_sdwa v17, v3, v17 dst_sel:DWORD dst_unused:UNUSED_PAD src0_sel:DWORD src1_sel:BYTE_3
	v_lshl_or_b32 v18, v18, 4, v2
	v_xor_b32_e32 v17, 0x200, v17
	ds_add_u32 v18, v19 offset:8192
	v_lshl_or_b32 v17, v17, 2, v2
	ds_add_u32 v17, v19 offset:12288
	s_waitcnt vmcnt(5)
	v_lshlrev_b32_e32 v17, 4, v16
	v_and_or_b32 v17, v17, s0, v2
	ds_add_u32 v17, v19
	v_bfe_u32 v17, v16, 8, 8
	v_lshl_or_b32 v17, v17, 4, v2
	ds_add_u32 v17, v19 offset:4096
	v_bfe_u32 v17, v16, 16, 8
	v_lshlrev_b32_sdwa v16, v3, v16 dst_sel:DWORD dst_unused:UNUSED_PAD src0_sel:DWORD src1_sel:BYTE_3
	v_lshl_or_b32 v17, v17, 4, v2
	v_xor_b32_e32 v16, 0x200, v16
	ds_add_u32 v17, v19 offset:8192
	;; [unrolled: 14-line block ×3, first 2 shown]
	v_lshl_or_b32 v15, v15, 2, v2
	ds_add_u32 v15, v19 offset:12288
	v_lshlrev_b32_e32 v15, 4, v14
	v_and_or_b32 v15, v15, s0, v2
	ds_add_u32 v15, v19
	v_bfe_u32 v15, v14, 8, 8
	v_lshl_or_b32 v15, v15, 4, v2
	ds_add_u32 v15, v19 offset:4096
	v_bfe_u32 v15, v14, 16, 8
	v_lshlrev_b32_sdwa v14, v3, v14 dst_sel:DWORD dst_unused:UNUSED_PAD src0_sel:DWORD src1_sel:BYTE_3
	v_lshl_or_b32 v15, v15, 4, v2
	v_xor_b32_e32 v14, 0x200, v14
	ds_add_u32 v15, v19 offset:8192
	v_lshl_or_b32 v14, v14, 2, v2
	ds_add_u32 v14, v19 offset:12288
	v_lshlrev_b32_e32 v14, 4, v13
	v_and_or_b32 v14, v14, s0, v2
	ds_add_u32 v14, v19
	v_bfe_u32 v14, v13, 8, 8
	v_lshl_or_b32 v14, v14, 4, v2
	ds_add_u32 v14, v19 offset:4096
	v_bfe_u32 v14, v13, 16, 8
	v_lshlrev_b32_sdwa v13, v3, v13 dst_sel:DWORD dst_unused:UNUSED_PAD src0_sel:DWORD src1_sel:BYTE_3
	v_lshl_or_b32 v14, v14, 4, v2
	v_xor_b32_e32 v13, 0x200, v13
	ds_add_u32 v14, v19 offset:8192
	;; [unrolled: 13-line block ×8, first 2 shown]
	v_lshl_or_b32 v7, v7, 2, v2
	ds_add_u32 v7, v19 offset:12288
	s_waitcnt vmcnt(3)
	v_lshlrev_b32_e32 v7, 4, v6
	v_and_or_b32 v7, v7, s0, v2
	ds_add_u32 v7, v19
	v_bfe_u32 v7, v6, 8, 8
	v_lshl_or_b32 v7, v7, 4, v2
	ds_add_u32 v7, v19 offset:4096
	v_bfe_u32 v7, v6, 16, 8
	v_lshlrev_b32_sdwa v6, v3, v6 dst_sel:DWORD dst_unused:UNUSED_PAD src0_sel:DWORD src1_sel:BYTE_3
	v_lshl_or_b32 v7, v7, 4, v2
	v_xor_b32_e32 v6, 0x200, v6
	ds_add_u32 v7, v19 offset:8192
	v_lshl_or_b32 v6, v6, 2, v2
	ds_add_u32 v6, v19 offset:12288
	s_waitcnt vmcnt(2)
	v_lshlrev_b32_e32 v6, 4, v5
	v_and_or_b32 v6, v6, s0, v2
	ds_add_u32 v6, v19
	v_bfe_u32 v6, v5, 8, 8
	v_lshl_or_b32 v6, v6, 4, v2
	ds_add_u32 v6, v19 offset:4096
	v_bfe_u32 v6, v5, 16, 8
	v_lshlrev_b32_sdwa v5, v3, v5 dst_sel:DWORD dst_unused:UNUSED_PAD src0_sel:DWORD src1_sel:BYTE_3
	v_lshl_or_b32 v6, v6, 4, v2
	v_xor_b32_e32 v5, 0x200, v5
	ds_add_u32 v6, v19 offset:8192
	;; [unrolled: 14-line block ×4, first 2 shown]
	v_lshl_or_b32 v1, v1, 2, v2
	ds_add_u32 v1, v19 offset:12288
	s_movk_i32 s0, 0x100
	v_cmp_gt_u32_e32 vcc, s0, v0
	s_waitcnt lgkmcnt(0)
	s_barrier
	s_and_saveexec_b64 s[0:1], vcc
	s_cbranch_execz .LBB23_154
; %bb.153:
	v_lshlrev_b32_e32 v8, 4, v0
	ds_read2_b32 v[2:3], v8 offset1:1
	ds_read2_b32 v[4:5], v8 offset0:2 offset1:3
	v_mov_b32_e32 v1, 0
	v_lshlrev_b32_e32 v0, 3, v0
	v_mov_b32_e32 v7, v1
	s_waitcnt lgkmcnt(1)
	v_add_u32_e32 v2, v3, v2
	s_waitcnt lgkmcnt(0)
	v_add3_u32 v6, v2, v4, v5
	global_atomic_add_x2 v0, v[6:7], s[38:39]
	v_or_b32_e32 v2, 0x1000, v8
	v_or_b32_e32 v4, 0x1008, v8
	ds_read2_b32 v[2:3], v2 offset1:1
	ds_read2_b32 v[4:5], v4 offset1:1
	s_movk_i32 s0, 0x1000
	s_waitcnt lgkmcnt(1)
	v_add_u32_e32 v2, v3, v2
	s_waitcnt lgkmcnt(0)
	v_add3_u32 v6, v2, v4, v5
	global_atomic_add_x2 v0, v[6:7], s[38:39] offset:2048
	v_or_b32_e32 v2, 0x2000, v8
	v_or_b32_e32 v4, 0x2008, v8
	ds_read2_b32 v[2:3], v2 offset1:1
	ds_read2_b32 v[4:5], v4 offset1:1
	v_lshl_add_u64 v[6:7], s[38:39], 0, v[0:1]
	s_waitcnt lgkmcnt(1)
	v_add_u32_e32 v0, v3, v2
	v_add_co_u32_e32 v2, vcc, s0, v6
	s_waitcnt lgkmcnt(0)
	v_add3_u32 v0, v0, v4, v5
	v_addc_co_u32_e32 v3, vcc, 0, v7, vcc
	global_atomic_add_x2 v[2:3], v[0:1], off
	v_or_b32_e32 v0, 0x3000, v8
	v_or_b32_e32 v6, 0x3008, v8
	ds_read2_b32 v[4:5], v0 offset1:1
	ds_read2_b32 v[6:7], v6 offset1:1
	s_waitcnt lgkmcnt(1)
	v_add_u32_e32 v0, v5, v4
	s_waitcnt lgkmcnt(0)
	v_add3_u32 v0, v0, v6, v7
	global_atomic_add_x2 v[2:3], v[0:1], off offset:2048
.LBB23_154:
	s_endpgm
	.section	.rodata,"a",@progbits
	.p2align	6, 0x0
	.amdhsa_kernel _ZN7rocprim17ROCPRIM_304000_NS6detail26onesweep_histograms_kernelINS1_34wrapped_radix_sort_onesweep_configINS0_14default_configEiN2at4cuda3cub6detail10OpaqueTypeILi2EEEEELb0EPKimNS0_19identity_decomposerEEEvT1_PT2_SG_SG_T3_jj
		.amdhsa_group_segment_fixed_size 16384
		.amdhsa_private_segment_fixed_size 0
		.amdhsa_kernarg_size 44
		.amdhsa_user_sgpr_count 2
		.amdhsa_user_sgpr_dispatch_ptr 0
		.amdhsa_user_sgpr_queue_ptr 0
		.amdhsa_user_sgpr_kernarg_segment_ptr 1
		.amdhsa_user_sgpr_dispatch_id 0
		.amdhsa_user_sgpr_kernarg_preload_length 0
		.amdhsa_user_sgpr_kernarg_preload_offset 0
		.amdhsa_user_sgpr_private_segment_size 0
		.amdhsa_uses_dynamic_stack 0
		.amdhsa_enable_private_segment 0
		.amdhsa_system_sgpr_workgroup_id_x 1
		.amdhsa_system_sgpr_workgroup_id_y 0
		.amdhsa_system_sgpr_workgroup_id_z 0
		.amdhsa_system_sgpr_workgroup_info 0
		.amdhsa_system_vgpr_workitem_id 0
		.amdhsa_next_free_vgpr 26
		.amdhsa_next_free_sgpr 47
		.amdhsa_accum_offset 28
		.amdhsa_reserve_vcc 1
		.amdhsa_float_round_mode_32 0
		.amdhsa_float_round_mode_16_64 0
		.amdhsa_float_denorm_mode_32 3
		.amdhsa_float_denorm_mode_16_64 3
		.amdhsa_dx10_clamp 1
		.amdhsa_ieee_mode 1
		.amdhsa_fp16_overflow 0
		.amdhsa_tg_split 0
		.amdhsa_exception_fp_ieee_invalid_op 0
		.amdhsa_exception_fp_denorm_src 0
		.amdhsa_exception_fp_ieee_div_zero 0
		.amdhsa_exception_fp_ieee_overflow 0
		.amdhsa_exception_fp_ieee_underflow 0
		.amdhsa_exception_fp_ieee_inexact 0
		.amdhsa_exception_int_div_zero 0
	.end_amdhsa_kernel
	.section	.text._ZN7rocprim17ROCPRIM_304000_NS6detail26onesweep_histograms_kernelINS1_34wrapped_radix_sort_onesweep_configINS0_14default_configEiN2at4cuda3cub6detail10OpaqueTypeILi2EEEEELb0EPKimNS0_19identity_decomposerEEEvT1_PT2_SG_SG_T3_jj,"axG",@progbits,_ZN7rocprim17ROCPRIM_304000_NS6detail26onesweep_histograms_kernelINS1_34wrapped_radix_sort_onesweep_configINS0_14default_configEiN2at4cuda3cub6detail10OpaqueTypeILi2EEEEELb0EPKimNS0_19identity_decomposerEEEvT1_PT2_SG_SG_T3_jj,comdat
.Lfunc_end23:
	.size	_ZN7rocprim17ROCPRIM_304000_NS6detail26onesweep_histograms_kernelINS1_34wrapped_radix_sort_onesweep_configINS0_14default_configEiN2at4cuda3cub6detail10OpaqueTypeILi2EEEEELb0EPKimNS0_19identity_decomposerEEEvT1_PT2_SG_SG_T3_jj, .Lfunc_end23-_ZN7rocprim17ROCPRIM_304000_NS6detail26onesweep_histograms_kernelINS1_34wrapped_radix_sort_onesweep_configINS0_14default_configEiN2at4cuda3cub6detail10OpaqueTypeILi2EEEEELb0EPKimNS0_19identity_decomposerEEEvT1_PT2_SG_SG_T3_jj
                                        ; -- End function
	.set _ZN7rocprim17ROCPRIM_304000_NS6detail26onesweep_histograms_kernelINS1_34wrapped_radix_sort_onesweep_configINS0_14default_configEiN2at4cuda3cub6detail10OpaqueTypeILi2EEEEELb0EPKimNS0_19identity_decomposerEEEvT1_PT2_SG_SG_T3_jj.num_vgpr, 26
	.set _ZN7rocprim17ROCPRIM_304000_NS6detail26onesweep_histograms_kernelINS1_34wrapped_radix_sort_onesweep_configINS0_14default_configEiN2at4cuda3cub6detail10OpaqueTypeILi2EEEEELb0EPKimNS0_19identity_decomposerEEEvT1_PT2_SG_SG_T3_jj.num_agpr, 0
	.set _ZN7rocprim17ROCPRIM_304000_NS6detail26onesweep_histograms_kernelINS1_34wrapped_radix_sort_onesweep_configINS0_14default_configEiN2at4cuda3cub6detail10OpaqueTypeILi2EEEEELb0EPKimNS0_19identity_decomposerEEEvT1_PT2_SG_SG_T3_jj.numbered_sgpr, 47
	.set _ZN7rocprim17ROCPRIM_304000_NS6detail26onesweep_histograms_kernelINS1_34wrapped_radix_sort_onesweep_configINS0_14default_configEiN2at4cuda3cub6detail10OpaqueTypeILi2EEEEELb0EPKimNS0_19identity_decomposerEEEvT1_PT2_SG_SG_T3_jj.num_named_barrier, 0
	.set _ZN7rocprim17ROCPRIM_304000_NS6detail26onesweep_histograms_kernelINS1_34wrapped_radix_sort_onesweep_configINS0_14default_configEiN2at4cuda3cub6detail10OpaqueTypeILi2EEEEELb0EPKimNS0_19identity_decomposerEEEvT1_PT2_SG_SG_T3_jj.private_seg_size, 0
	.set _ZN7rocprim17ROCPRIM_304000_NS6detail26onesweep_histograms_kernelINS1_34wrapped_radix_sort_onesweep_configINS0_14default_configEiN2at4cuda3cub6detail10OpaqueTypeILi2EEEEELb0EPKimNS0_19identity_decomposerEEEvT1_PT2_SG_SG_T3_jj.uses_vcc, 1
	.set _ZN7rocprim17ROCPRIM_304000_NS6detail26onesweep_histograms_kernelINS1_34wrapped_radix_sort_onesweep_configINS0_14default_configEiN2at4cuda3cub6detail10OpaqueTypeILi2EEEEELb0EPKimNS0_19identity_decomposerEEEvT1_PT2_SG_SG_T3_jj.uses_flat_scratch, 0
	.set _ZN7rocprim17ROCPRIM_304000_NS6detail26onesweep_histograms_kernelINS1_34wrapped_radix_sort_onesweep_configINS0_14default_configEiN2at4cuda3cub6detail10OpaqueTypeILi2EEEEELb0EPKimNS0_19identity_decomposerEEEvT1_PT2_SG_SG_T3_jj.has_dyn_sized_stack, 0
	.set _ZN7rocprim17ROCPRIM_304000_NS6detail26onesweep_histograms_kernelINS1_34wrapped_radix_sort_onesweep_configINS0_14default_configEiN2at4cuda3cub6detail10OpaqueTypeILi2EEEEELb0EPKimNS0_19identity_decomposerEEEvT1_PT2_SG_SG_T3_jj.has_recursion, 0
	.set _ZN7rocprim17ROCPRIM_304000_NS6detail26onesweep_histograms_kernelINS1_34wrapped_radix_sort_onesweep_configINS0_14default_configEiN2at4cuda3cub6detail10OpaqueTypeILi2EEEEELb0EPKimNS0_19identity_decomposerEEEvT1_PT2_SG_SG_T3_jj.has_indirect_call, 0
	.section	.AMDGPU.csdata,"",@progbits
; Kernel info:
; codeLenInByte = 6536
; TotalNumSgprs: 53
; NumVgprs: 26
; NumAgprs: 0
; TotalNumVgprs: 26
; ScratchSize: 0
; MemoryBound: 0
; FloatMode: 240
; IeeeMode: 1
; LDSByteSize: 16384 bytes/workgroup (compile time only)
; SGPRBlocks: 6
; VGPRBlocks: 3
; NumSGPRsForWavesPerEU: 53
; NumVGPRsForWavesPerEU: 26
; AccumOffset: 28
; Occupancy: 8
; WaveLimiterHint : 1
; COMPUTE_PGM_RSRC2:SCRATCH_EN: 0
; COMPUTE_PGM_RSRC2:USER_SGPR: 2
; COMPUTE_PGM_RSRC2:TRAP_HANDLER: 0
; COMPUTE_PGM_RSRC2:TGID_X_EN: 1
; COMPUTE_PGM_RSRC2:TGID_Y_EN: 0
; COMPUTE_PGM_RSRC2:TGID_Z_EN: 0
; COMPUTE_PGM_RSRC2:TIDIG_COMP_CNT: 0
; COMPUTE_PGM_RSRC3_GFX90A:ACCUM_OFFSET: 6
; COMPUTE_PGM_RSRC3_GFX90A:TG_SPLIT: 0
	.section	.text._ZN7rocprim17ROCPRIM_304000_NS6detail25onesweep_iteration_kernelINS1_34wrapped_radix_sort_onesweep_configINS0_14default_configEiN2at4cuda3cub6detail10OpaqueTypeILi2EEEEELb0EPKiPiPKSA_PSA_mNS0_19identity_decomposerEEEvT1_T2_T3_T4_jPT5_SO_PNS1_23onesweep_lookback_stateET6_jjj,"axG",@progbits,_ZN7rocprim17ROCPRIM_304000_NS6detail25onesweep_iteration_kernelINS1_34wrapped_radix_sort_onesweep_configINS0_14default_configEiN2at4cuda3cub6detail10OpaqueTypeILi2EEEEELb0EPKiPiPKSA_PSA_mNS0_19identity_decomposerEEEvT1_T2_T3_T4_jPT5_SO_PNS1_23onesweep_lookback_stateET6_jjj,comdat
	.protected	_ZN7rocprim17ROCPRIM_304000_NS6detail25onesweep_iteration_kernelINS1_34wrapped_radix_sort_onesweep_configINS0_14default_configEiN2at4cuda3cub6detail10OpaqueTypeILi2EEEEELb0EPKiPiPKSA_PSA_mNS0_19identity_decomposerEEEvT1_T2_T3_T4_jPT5_SO_PNS1_23onesweep_lookback_stateET6_jjj ; -- Begin function _ZN7rocprim17ROCPRIM_304000_NS6detail25onesweep_iteration_kernelINS1_34wrapped_radix_sort_onesweep_configINS0_14default_configEiN2at4cuda3cub6detail10OpaqueTypeILi2EEEEELb0EPKiPiPKSA_PSA_mNS0_19identity_decomposerEEEvT1_T2_T3_T4_jPT5_SO_PNS1_23onesweep_lookback_stateET6_jjj
	.globl	_ZN7rocprim17ROCPRIM_304000_NS6detail25onesweep_iteration_kernelINS1_34wrapped_radix_sort_onesweep_configINS0_14default_configEiN2at4cuda3cub6detail10OpaqueTypeILi2EEEEELb0EPKiPiPKSA_PSA_mNS0_19identity_decomposerEEEvT1_T2_T3_T4_jPT5_SO_PNS1_23onesweep_lookback_stateET6_jjj
	.p2align	8
	.type	_ZN7rocprim17ROCPRIM_304000_NS6detail25onesweep_iteration_kernelINS1_34wrapped_radix_sort_onesweep_configINS0_14default_configEiN2at4cuda3cub6detail10OpaqueTypeILi2EEEEELb0EPKiPiPKSA_PSA_mNS0_19identity_decomposerEEEvT1_T2_T3_T4_jPT5_SO_PNS1_23onesweep_lookback_stateET6_jjj,@function
_ZN7rocprim17ROCPRIM_304000_NS6detail25onesweep_iteration_kernelINS1_34wrapped_radix_sort_onesweep_configINS0_14default_configEiN2at4cuda3cub6detail10OpaqueTypeILi2EEEEELb0EPKiPiPKSA_PSA_mNS0_19identity_decomposerEEEvT1_T2_T3_T4_jPT5_SO_PNS1_23onesweep_lookback_stateET6_jjj: ; @_ZN7rocprim17ROCPRIM_304000_NS6detail25onesweep_iteration_kernelINS1_34wrapped_radix_sort_onesweep_configINS0_14default_configEiN2at4cuda3cub6detail10OpaqueTypeILi2EEEEELb0EPKiPiPKSA_PSA_mNS0_19identity_decomposerEEEvT1_T2_T3_T4_jPT5_SO_PNS1_23onesweep_lookback_stateET6_jjj
; %bb.0:
	s_load_dwordx8 s[68:75], s[0:1], 0x0
	s_load_dwordx4 s[80:83], s[0:1], 0x44
	s_load_dwordx4 s[76:79], s[0:1], 0x28
	s_load_dwordx2 s[84:85], s[0:1], 0x38
	s_mov_b32 s3, s2
	s_mov_b64 s[4:5], -1
	s_waitcnt lgkmcnt(0)
	s_cmp_ge_u32 s2, s82
	v_mbcnt_lo_u32_b32 v1, -1, 0
	s_cbranch_scc0 .LBB24_196
; %bb.1:
	s_load_dword s4, s[0:1], 0x20
	s_lshl_b32 s5, s82, 12
	s_lshl_b32 s82, s2, 12
	s_mov_b32 s83, 0
	v_and_b32_e32 v2, 0x3ff, v0
	s_waitcnt lgkmcnt(0)
	s_sub_i32 s86, s4, s5
	s_lshl_b64 s[4:5], s[82:83], 2
	s_add_u32 s4, s68, s4
	v_mbcnt_hi_u32_b32 v14, -1, v1
	v_lshlrev_b32_e32 v3, 4, v2
	s_addc_u32 s5, s69, s5
	v_and_b32_e32 v3, 0xc00, v3
	v_mov_b32_e32 v5, 0
	v_lshlrev_b32_e32 v4, 2, v14
	v_lshl_add_u64 v[6:7], s[4:5], 0, v[4:5]
	v_lshlrev_b32_e32 v4, 2, v3
	v_lshl_add_u64 v[4:5], v[6:7], 0, v[4:5]
	v_or_b32_e32 v6, v14, v3
	v_mov_b32_e32 v8, -1
	v_cmp_gt_u32_e32 vcc, s86, v6
	v_mov_b32_e32 v9, -1
	s_and_saveexec_b64 s[4:5], vcc
	s_cbranch_execz .LBB24_3
; %bb.2:
	global_load_dword v7, v[4:5], off
	s_waitcnt vmcnt(0)
	v_xor_b32_e32 v9, 0x80000000, v7
.LBB24_3:
	s_or_b64 exec, exec, s[4:5]
	v_add_u32_e32 v7, 64, v6
	v_cmp_gt_u32_e64 s[66:67], s86, v7
	s_and_saveexec_b64 s[4:5], s[66:67]
	s_cbranch_execz .LBB24_5
; %bb.4:
	global_load_dword v7, v[4:5], off offset:256
	s_waitcnt vmcnt(0)
	v_xor_b32_e32 v8, 0x80000000, v7
.LBB24_5:
	s_or_b64 exec, exec, s[4:5]
	v_add_u32_e32 v7, 0x80, v6
	v_cmp_gt_u32_e64 s[4:5], s86, v7
	v_mov_b32_e32 v10, -1
	v_mov_b32_e32 v11, -1
	s_and_saveexec_b64 s[6:7], s[4:5]
	s_cbranch_execz .LBB24_7
; %bb.6:
	global_load_dword v7, v[4:5], off offset:512
	s_waitcnt vmcnt(0)
	v_xor_b32_e32 v11, 0x80000000, v7
.LBB24_7:
	s_or_b64 exec, exec, s[6:7]
	v_add_u32_e32 v7, 0xc0, v6
	v_cmp_gt_u32_e64 s[6:7], s86, v7
	s_and_saveexec_b64 s[8:9], s[6:7]
	s_cbranch_execz .LBB24_9
; %bb.8:
	global_load_dword v7, v[4:5], off offset:768
	s_waitcnt vmcnt(0)
	v_xor_b32_e32 v10, 0x80000000, v7
.LBB24_9:
	s_or_b64 exec, exec, s[8:9]
	v_add_u32_e32 v7, 0x100, v6
	v_cmp_gt_u32_e64 s[8:9], s86, v7
	v_mov_b32_e32 v12, -1
	v_mov_b32_e32 v13, -1
	s_and_saveexec_b64 s[10:11], s[8:9]
	s_cbranch_execz .LBB24_11
; %bb.10:
	global_load_dword v7, v[4:5], off offset:1024
	s_waitcnt vmcnt(0)
	v_xor_b32_e32 v13, 0x80000000, v7
.LBB24_11:
	;; [unrolled: 22-line block ×7, first 2 shown]
	s_or_b64 exec, exec, s[30:31]
	v_add_u32_e32 v6, 0x3c0, v6
	v_cmp_gt_u32_e64 s[30:31], s86, v6
	s_and_saveexec_b64 s[34:35], s[30:31]
	s_cbranch_execz .LBB24_33
; %bb.32:
	global_load_dword v4, v[4:5], off offset:3840
	s_waitcnt vmcnt(0)
	v_xor_b32_e32 v23, 0x80000000, v4
.LBB24_33:
	s_or_b64 exec, exec, s[34:35]
	s_load_dword s34, s[0:1], 0x5c
	s_load_dword s33, s[0:1], 0x50
	s_add_u32 s35, s0, 0x50
	s_addc_u32 s36, s1, 0
	v_mov_b32_e32 v5, 0
	s_waitcnt lgkmcnt(0)
	s_lshr_b32 s37, s34, 16
	s_cmp_lt_u32 s2, s33
	s_cselect_b32 s34, 12, 18
	s_add_u32 s34, s35, s34
	s_addc_u32 s35, s36, 0
	global_load_ushort v40, v5, s[34:35]
	v_lshrrev_b32_e32 v27, s80, v9
	s_lshl_b32 s34, -1, s81
	v_bfe_u32 v4, v0, 10, 10
	v_bfe_u32 v7, v0, 20, 10
	v_bitop3_b32 v37, v27, s34, v27 bitop3:0x30
	v_mad_u32_u24 v41, v7, s37, v4
	v_and_b32_e32 v4, 1, v37
	v_lshlrev_b32_e32 v7, 30, v37
	v_mov_b32_e32 v6, v5
	v_mov_b32_e32 v28, v5
	s_not_b32 s88, s34
	v_lshlrev_b32_e32 v27, 29, v37
	v_lshlrev_b32_e32 v29, 28, v37
	v_lshl_add_u64 v[38:39], v[4:5], 0, -1
	v_cmp_ne_u32_e64 s[34:35], 0, v4
	v_not_b32_e32 v4, v7
	v_mov_b32_e32 v26, v5
	v_mov_b32_e32 v30, v5
	v_lshlrev_b32_e32 v31, 27, v37
	v_cmp_gt_i64_e64 s[36:37], 0, v[6:7]
	v_not_b32_e32 v6, v27
	v_cmp_gt_i64_e64 s[40:41], 0, v[28:29]
	v_not_b32_e32 v7, v29
	v_xor_b32_e32 v29, s35, v39
	v_ashrrev_i32_e32 v4, 31, v4
	v_mov_b32_e32 v32, v5
	v_lshlrev_b32_e32 v33, 26, v37
	v_cmp_gt_i64_e64 s[38:39], 0, v[26:27]
	v_cmp_gt_i64_e64 s[42:43], 0, v[30:31]
	v_not_b32_e32 v26, v31
	v_xor_b32_e32 v30, s34, v38
	v_ashrrev_i32_e32 v6, 31, v6
	v_and_b32_e32 v29, exec_hi, v29
	v_xor_b32_e32 v31, s37, v4
	v_cmp_gt_i64_e64 s[44:45], 0, v[32:33]
	v_ashrrev_i32_e32 v7, 31, v7
	v_and_b32_e32 v30, exec_lo, v30
	v_xor_b32_e32 v4, s36, v4
	v_xor_b32_e32 v32, s39, v6
	v_and_b32_e32 v29, v29, v31
	v_mov_b32_e32 v34, v5
	v_lshlrev_b32_e32 v35, 25, v37
	v_not_b32_e32 v27, v33
	v_ashrrev_i32_e32 v26, 31, v26
	v_xor_b32_e32 v6, s38, v6
	v_xor_b32_e32 v33, s41, v7
	v_and_b32_e32 v4, v30, v4
	v_and_b32_e32 v29, v29, v32
	v_cmp_gt_i64_e64 s[46:47], 0, v[34:35]
	v_not_b32_e32 v28, v35
	v_ashrrev_i32_e32 v27, 31, v27
	v_xor_b32_e32 v34, s43, v26
	v_and_b32_e32 v4, v4, v6
	v_and_b32_e32 v6, v29, v33
	v_ashrrev_i32_e32 v28, 31, v28
	v_xor_b32_e32 v7, s40, v7
	v_xor_b32_e32 v35, s45, v27
	v_and_b32_e32 v6, v6, v34
	v_xor_b32_e32 v26, s42, v26
	v_xor_b32_e32 v38, s47, v28
	v_and_b32_e32 v4, v4, v7
	v_and_b32_e32 v6, v6, v35
	v_mul_lo_u32 v42, v37, 20
	v_lshlrev_b32_e32 v37, 24, v37
	v_and_b32_e32 v4, v4, v26
	v_and_b32_e32 v26, v6, v38
	v_mov_b32_e32 v36, v5
	v_xor_b32_e32 v27, s44, v27
	v_xor_b32_e32 v28, s46, v28
	v_and_b32_e32 v4, v4, v27
	v_and_b32_e32 v4, v4, v28
	v_mul_u32_u24_e32 v25, 20, v2
	ds_write2_b32 v25, v5, v5 offset0:4 offset1:5
	ds_write2_b32 v25, v5, v5 offset0:6 offset1:7
	ds_write_b32 v25, v5 offset:32
	s_waitcnt lgkmcnt(0)
	s_barrier
	s_waitcnt vmcnt(0)
	; wave barrier
	v_mad_u64_u32 v[6:7], s[34:35], v41, v40, v[2:3]
	v_lshrrev_b32_e32 v35, 6, v6
	v_not_b32_e32 v6, v37
	v_cmp_gt_i64_e64 s[34:35], 0, v[36:37]
	v_ashrrev_i32_e32 v6, 31, v6
	v_lshl_add_u32 v27, v35, 2, v42
	v_xor_b32_e32 v7, s35, v6
	v_xor_b32_e32 v6, s34, v6
	v_and_b32_e32 v6, v4, v6
	v_and_b32_e32 v7, v26, v7
	v_mbcnt_lo_u32_b32 v4, v6, 0
	v_mbcnt_hi_u32_b32 v26, v7, v4
	v_cmp_eq_u32_e64 s[34:35], 0, v26
	v_cmp_ne_u64_e64 s[36:37], 0, v[6:7]
	s_and_b64 s[36:37], s[36:37], s[34:35]
	s_and_saveexec_b64 s[34:35], s[36:37]
; %bb.34:
	v_bcnt_u32_b32 v4, v6, 0
	v_bcnt_u32_b32 v4, v7, v4
	ds_write_b32 v27, v4 offset:16
; %bb.35:
	s_or_b64 exec, exec, s[34:35]
	v_lshrrev_b32_e32 v4, s80, v8
	v_and_b32_e32 v30, s88, v4
	v_mul_lo_u32 v4, v30, 20
	v_lshl_add_u32 v29, v35, 2, v4
	v_and_b32_e32 v4, 1, v30
	v_lshl_add_u64 v[6:7], v[4:5], 0, -1
	v_cmp_ne_u32_e64 s[34:35], 0, v4
	; wave barrier
	s_nop 1
	v_xor_b32_e32 v6, s34, v6
	v_xor_b32_e32 v4, s35, v7
	v_and_b32_e32 v31, exec_lo, v6
	v_lshlrev_b32_e32 v7, 30, v30
	v_mov_b32_e32 v6, v5
	v_cmp_gt_i64_e64 s[34:35], 0, v[6:7]
	v_not_b32_e32 v6, v7
	v_ashrrev_i32_e32 v6, 31, v6
	v_and_b32_e32 v4, exec_hi, v4
	v_xor_b32_e32 v7, s35, v6
	v_xor_b32_e32 v6, s34, v6
	v_and_b32_e32 v4, v4, v7
	v_and_b32_e32 v31, v31, v6
	v_lshlrev_b32_e32 v7, 29, v30
	v_mov_b32_e32 v6, v5
	v_cmp_gt_i64_e64 s[34:35], 0, v[6:7]
	v_not_b32_e32 v6, v7
	v_ashrrev_i32_e32 v6, 31, v6
	v_xor_b32_e32 v7, s35, v6
	v_xor_b32_e32 v6, s34, v6
	v_and_b32_e32 v4, v4, v7
	v_and_b32_e32 v31, v31, v6
	v_lshlrev_b32_e32 v7, 28, v30
	v_mov_b32_e32 v6, v5
	v_cmp_gt_i64_e64 s[34:35], 0, v[6:7]
	v_not_b32_e32 v6, v7
	v_ashrrev_i32_e32 v6, 31, v6
	;; [unrolled: 9-line block ×5, first 2 shown]
	v_xor_b32_e32 v7, s35, v6
	v_xor_b32_e32 v6, s34, v6
	v_and_b32_e32 v4, v4, v7
	v_lshlrev_b32_e32 v7, 24, v30
	v_and_b32_e32 v31, v31, v6
	v_mov_b32_e32 v6, v5
	v_not_b32_e32 v5, v7
	v_cmp_gt_i64_e64 s[34:35], 0, v[6:7]
	v_ashrrev_i32_e32 v5, 31, v5
	ds_read_b32 v28, v29 offset:16
	v_xor_b32_e32 v6, s35, v5
	v_xor_b32_e32 v7, s34, v5
	v_and_b32_e32 v5, v4, v6
	v_and_b32_e32 v4, v31, v7
	v_mbcnt_lo_u32_b32 v6, v4, 0
	v_mbcnt_hi_u32_b32 v30, v5, v6
	v_cmp_eq_u32_e64 s[34:35], 0, v30
	v_cmp_ne_u64_e64 s[36:37], 0, v[4:5]
	s_and_b64 s[36:37], s[36:37], s[34:35]
	; wave barrier
	s_and_saveexec_b64 s[34:35], s[36:37]
	s_cbranch_execz .LBB24_37
; %bb.36:
	v_bcnt_u32_b32 v4, v4, 0
	v_bcnt_u32_b32 v4, v5, v4
	s_waitcnt lgkmcnt(0)
	v_add_u32_e32 v4, v28, v4
	ds_write_b32 v29, v4 offset:16
.LBB24_37:
	s_or_b64 exec, exec, s[34:35]
	v_lshrrev_b32_e32 v4, s80, v11
	v_and_b32_e32 v33, s88, v4
	v_mul_lo_u32 v4, v33, 20
	v_lshl_add_u32 v32, v35, 2, v4
	v_and_b32_e32 v4, 1, v33
	v_mov_b32_e32 v5, 0
	v_lshl_add_u64 v[6:7], v[4:5], 0, -1
	v_cmp_ne_u32_e64 s[34:35], 0, v4
	; wave barrier
	s_nop 1
	v_xor_b32_e32 v6, s34, v6
	v_xor_b32_e32 v4, s35, v7
	v_and_b32_e32 v34, exec_lo, v6
	v_lshlrev_b32_e32 v7, 30, v33
	v_mov_b32_e32 v6, v5
	v_cmp_gt_i64_e64 s[34:35], 0, v[6:7]
	v_not_b32_e32 v6, v7
	v_ashrrev_i32_e32 v6, 31, v6
	v_and_b32_e32 v4, exec_hi, v4
	v_xor_b32_e32 v7, s35, v6
	v_xor_b32_e32 v6, s34, v6
	v_and_b32_e32 v4, v4, v7
	v_and_b32_e32 v34, v34, v6
	v_lshlrev_b32_e32 v7, 29, v33
	v_mov_b32_e32 v6, v5
	v_cmp_gt_i64_e64 s[34:35], 0, v[6:7]
	v_not_b32_e32 v6, v7
	v_ashrrev_i32_e32 v6, 31, v6
	v_xor_b32_e32 v7, s35, v6
	v_xor_b32_e32 v6, s34, v6
	v_and_b32_e32 v4, v4, v7
	v_and_b32_e32 v34, v34, v6
	v_lshlrev_b32_e32 v7, 28, v33
	v_mov_b32_e32 v6, v5
	v_cmp_gt_i64_e64 s[34:35], 0, v[6:7]
	v_not_b32_e32 v6, v7
	v_ashrrev_i32_e32 v6, 31, v6
	;; [unrolled: 9-line block ×6, first 2 shown]
	v_xor_b32_e32 v7, s35, v6
	v_xor_b32_e32 v6, s34, v6
	ds_read_b32 v31, v32 offset:16
	v_and_b32_e32 v6, v34, v6
	v_and_b32_e32 v7, v4, v7
	v_mbcnt_lo_u32_b32 v4, v6, 0
	v_mbcnt_hi_u32_b32 v33, v7, v4
	v_cmp_eq_u32_e64 s[34:35], 0, v33
	v_cmp_ne_u64_e64 s[36:37], 0, v[6:7]
	s_and_b64 s[36:37], s[36:37], s[34:35]
	; wave barrier
	s_and_saveexec_b64 s[34:35], s[36:37]
	s_cbranch_execz .LBB24_39
; %bb.38:
	v_bcnt_u32_b32 v4, v6, 0
	v_bcnt_u32_b32 v4, v7, v4
	s_waitcnt lgkmcnt(0)
	v_add_u32_e32 v4, v31, v4
	ds_write_b32 v32, v4 offset:16
.LBB24_39:
	s_or_b64 exec, exec, s[34:35]
	v_lshrrev_b32_e32 v4, s80, v10
	v_and_b32_e32 v37, s88, v4
	v_mul_lo_u32 v4, v37, 20
	v_lshl_add_u32 v36, v35, 2, v4
	v_and_b32_e32 v4, 1, v37
	v_lshl_add_u64 v[6:7], v[4:5], 0, -1
	v_cmp_ne_u32_e64 s[34:35], 0, v4
	; wave barrier
	s_nop 1
	v_xor_b32_e32 v6, s34, v6
	v_xor_b32_e32 v4, s35, v7
	v_and_b32_e32 v38, exec_lo, v6
	v_lshlrev_b32_e32 v7, 30, v37
	v_mov_b32_e32 v6, v5
	v_cmp_gt_i64_e64 s[34:35], 0, v[6:7]
	v_not_b32_e32 v6, v7
	v_ashrrev_i32_e32 v6, 31, v6
	v_and_b32_e32 v4, exec_hi, v4
	v_xor_b32_e32 v7, s35, v6
	v_xor_b32_e32 v6, s34, v6
	v_and_b32_e32 v4, v4, v7
	v_and_b32_e32 v38, v38, v6
	v_lshlrev_b32_e32 v7, 29, v37
	v_mov_b32_e32 v6, v5
	v_cmp_gt_i64_e64 s[34:35], 0, v[6:7]
	v_not_b32_e32 v6, v7
	v_ashrrev_i32_e32 v6, 31, v6
	v_xor_b32_e32 v7, s35, v6
	v_xor_b32_e32 v6, s34, v6
	v_and_b32_e32 v4, v4, v7
	v_and_b32_e32 v38, v38, v6
	v_lshlrev_b32_e32 v7, 28, v37
	v_mov_b32_e32 v6, v5
	v_cmp_gt_i64_e64 s[34:35], 0, v[6:7]
	v_not_b32_e32 v6, v7
	v_ashrrev_i32_e32 v6, 31, v6
	;; [unrolled: 9-line block ×5, first 2 shown]
	v_xor_b32_e32 v7, s35, v6
	v_xor_b32_e32 v6, s34, v6
	v_and_b32_e32 v4, v4, v7
	v_lshlrev_b32_e32 v7, 24, v37
	v_and_b32_e32 v38, v38, v6
	v_mov_b32_e32 v6, v5
	v_not_b32_e32 v5, v7
	v_cmp_gt_i64_e64 s[34:35], 0, v[6:7]
	v_ashrrev_i32_e32 v5, 31, v5
	ds_read_b32 v34, v36 offset:16
	v_xor_b32_e32 v6, s35, v5
	v_xor_b32_e32 v7, s34, v5
	v_and_b32_e32 v5, v4, v6
	v_and_b32_e32 v4, v38, v7
	v_mbcnt_lo_u32_b32 v6, v4, 0
	v_mbcnt_hi_u32_b32 v37, v5, v6
	v_cmp_eq_u32_e64 s[34:35], 0, v37
	v_cmp_ne_u64_e64 s[36:37], 0, v[4:5]
	s_and_b64 s[36:37], s[36:37], s[34:35]
	; wave barrier
	s_and_saveexec_b64 s[34:35], s[36:37]
	s_cbranch_execz .LBB24_41
; %bb.40:
	v_bcnt_u32_b32 v4, v4, 0
	v_bcnt_u32_b32 v4, v5, v4
	s_waitcnt lgkmcnt(0)
	v_add_u32_e32 v4, v34, v4
	ds_write_b32 v36, v4 offset:16
.LBB24_41:
	s_or_b64 exec, exec, s[34:35]
	v_lshrrev_b32_e32 v4, s80, v13
	v_and_b32_e32 v40, s88, v4
	v_mul_lo_u32 v4, v40, 20
	v_lshl_add_u32 v39, v35, 2, v4
	v_and_b32_e32 v4, 1, v40
	v_mov_b32_e32 v5, 0
	v_lshl_add_u64 v[6:7], v[4:5], 0, -1
	v_cmp_ne_u32_e64 s[34:35], 0, v4
	; wave barrier
	s_nop 1
	v_xor_b32_e32 v6, s34, v6
	v_xor_b32_e32 v4, s35, v7
	v_and_b32_e32 v41, exec_lo, v6
	v_lshlrev_b32_e32 v7, 30, v40
	v_mov_b32_e32 v6, v5
	v_cmp_gt_i64_e64 s[34:35], 0, v[6:7]
	v_not_b32_e32 v6, v7
	v_ashrrev_i32_e32 v6, 31, v6
	v_and_b32_e32 v4, exec_hi, v4
	v_xor_b32_e32 v7, s35, v6
	v_xor_b32_e32 v6, s34, v6
	v_and_b32_e32 v4, v4, v7
	v_and_b32_e32 v41, v41, v6
	v_lshlrev_b32_e32 v7, 29, v40
	v_mov_b32_e32 v6, v5
	v_cmp_gt_i64_e64 s[34:35], 0, v[6:7]
	v_not_b32_e32 v6, v7
	v_ashrrev_i32_e32 v6, 31, v6
	v_xor_b32_e32 v7, s35, v6
	v_xor_b32_e32 v6, s34, v6
	v_and_b32_e32 v4, v4, v7
	v_and_b32_e32 v41, v41, v6
	v_lshlrev_b32_e32 v7, 28, v40
	v_mov_b32_e32 v6, v5
	v_cmp_gt_i64_e64 s[34:35], 0, v[6:7]
	v_not_b32_e32 v6, v7
	v_ashrrev_i32_e32 v6, 31, v6
	;; [unrolled: 9-line block ×6, first 2 shown]
	v_xor_b32_e32 v7, s35, v6
	v_xor_b32_e32 v6, s34, v6
	ds_read_b32 v38, v39 offset:16
	v_and_b32_e32 v6, v41, v6
	v_and_b32_e32 v7, v4, v7
	v_mbcnt_lo_u32_b32 v4, v6, 0
	v_mbcnt_hi_u32_b32 v40, v7, v4
	v_cmp_eq_u32_e64 s[34:35], 0, v40
	v_cmp_ne_u64_e64 s[36:37], 0, v[6:7]
	s_and_b64 s[36:37], s[36:37], s[34:35]
	; wave barrier
	s_and_saveexec_b64 s[34:35], s[36:37]
	s_cbranch_execz .LBB24_43
; %bb.42:
	v_bcnt_u32_b32 v4, v6, 0
	v_bcnt_u32_b32 v4, v7, v4
	s_waitcnt lgkmcnt(0)
	v_add_u32_e32 v4, v38, v4
	ds_write_b32 v39, v4 offset:16
.LBB24_43:
	s_or_b64 exec, exec, s[34:35]
	v_lshrrev_b32_e32 v4, s80, v12
	v_and_b32_e32 v43, s88, v4
	v_mul_lo_u32 v4, v43, 20
	v_lshl_add_u32 v42, v35, 2, v4
	v_and_b32_e32 v4, 1, v43
	v_lshl_add_u64 v[6:7], v[4:5], 0, -1
	v_cmp_ne_u32_e64 s[34:35], 0, v4
	; wave barrier
	s_nop 1
	v_xor_b32_e32 v6, s34, v6
	v_xor_b32_e32 v4, s35, v7
	v_and_b32_e32 v44, exec_lo, v6
	v_lshlrev_b32_e32 v7, 30, v43
	v_mov_b32_e32 v6, v5
	v_cmp_gt_i64_e64 s[34:35], 0, v[6:7]
	v_not_b32_e32 v6, v7
	v_ashrrev_i32_e32 v6, 31, v6
	v_and_b32_e32 v4, exec_hi, v4
	v_xor_b32_e32 v7, s35, v6
	v_xor_b32_e32 v6, s34, v6
	v_and_b32_e32 v4, v4, v7
	v_and_b32_e32 v44, v44, v6
	v_lshlrev_b32_e32 v7, 29, v43
	v_mov_b32_e32 v6, v5
	v_cmp_gt_i64_e64 s[34:35], 0, v[6:7]
	v_not_b32_e32 v6, v7
	v_ashrrev_i32_e32 v6, 31, v6
	v_xor_b32_e32 v7, s35, v6
	v_xor_b32_e32 v6, s34, v6
	v_and_b32_e32 v4, v4, v7
	v_and_b32_e32 v44, v44, v6
	v_lshlrev_b32_e32 v7, 28, v43
	v_mov_b32_e32 v6, v5
	v_cmp_gt_i64_e64 s[34:35], 0, v[6:7]
	v_not_b32_e32 v6, v7
	v_ashrrev_i32_e32 v6, 31, v6
	;; [unrolled: 9-line block ×5, first 2 shown]
	v_xor_b32_e32 v7, s35, v6
	v_xor_b32_e32 v6, s34, v6
	v_and_b32_e32 v4, v4, v7
	v_lshlrev_b32_e32 v7, 24, v43
	v_and_b32_e32 v44, v44, v6
	v_mov_b32_e32 v6, v5
	v_not_b32_e32 v5, v7
	v_cmp_gt_i64_e64 s[34:35], 0, v[6:7]
	v_ashrrev_i32_e32 v5, 31, v5
	ds_read_b32 v41, v42 offset:16
	v_xor_b32_e32 v6, s35, v5
	v_xor_b32_e32 v7, s34, v5
	v_and_b32_e32 v5, v4, v6
	v_and_b32_e32 v4, v44, v7
	v_mbcnt_lo_u32_b32 v6, v4, 0
	v_mbcnt_hi_u32_b32 v43, v5, v6
	v_cmp_eq_u32_e64 s[34:35], 0, v43
	v_cmp_ne_u64_e64 s[36:37], 0, v[4:5]
	s_and_b64 s[36:37], s[36:37], s[34:35]
	; wave barrier
	s_and_saveexec_b64 s[34:35], s[36:37]
	s_cbranch_execz .LBB24_45
; %bb.44:
	v_bcnt_u32_b32 v4, v4, 0
	v_bcnt_u32_b32 v4, v5, v4
	s_waitcnt lgkmcnt(0)
	v_add_u32_e32 v4, v41, v4
	ds_write_b32 v42, v4 offset:16
.LBB24_45:
	s_or_b64 exec, exec, s[34:35]
	v_lshrrev_b32_e32 v4, s80, v16
	v_and_b32_e32 v46, s88, v4
	v_mul_lo_u32 v4, v46, 20
	v_lshl_add_u32 v45, v35, 2, v4
	v_and_b32_e32 v4, 1, v46
	v_mov_b32_e32 v5, 0
	v_lshl_add_u64 v[6:7], v[4:5], 0, -1
	v_cmp_ne_u32_e64 s[34:35], 0, v4
	; wave barrier
	s_nop 1
	v_xor_b32_e32 v6, s34, v6
	v_xor_b32_e32 v4, s35, v7
	v_and_b32_e32 v47, exec_lo, v6
	v_lshlrev_b32_e32 v7, 30, v46
	v_mov_b32_e32 v6, v5
	v_cmp_gt_i64_e64 s[34:35], 0, v[6:7]
	v_not_b32_e32 v6, v7
	v_ashrrev_i32_e32 v6, 31, v6
	v_and_b32_e32 v4, exec_hi, v4
	v_xor_b32_e32 v7, s35, v6
	v_xor_b32_e32 v6, s34, v6
	v_and_b32_e32 v4, v4, v7
	v_and_b32_e32 v47, v47, v6
	v_lshlrev_b32_e32 v7, 29, v46
	v_mov_b32_e32 v6, v5
	v_cmp_gt_i64_e64 s[34:35], 0, v[6:7]
	v_not_b32_e32 v6, v7
	v_ashrrev_i32_e32 v6, 31, v6
	v_xor_b32_e32 v7, s35, v6
	v_xor_b32_e32 v6, s34, v6
	v_and_b32_e32 v4, v4, v7
	v_and_b32_e32 v47, v47, v6
	v_lshlrev_b32_e32 v7, 28, v46
	v_mov_b32_e32 v6, v5
	v_cmp_gt_i64_e64 s[34:35], 0, v[6:7]
	v_not_b32_e32 v6, v7
	v_ashrrev_i32_e32 v6, 31, v6
	;; [unrolled: 9-line block ×6, first 2 shown]
	v_xor_b32_e32 v7, s35, v6
	v_xor_b32_e32 v6, s34, v6
	ds_read_b32 v44, v45 offset:16
	v_and_b32_e32 v6, v47, v6
	v_and_b32_e32 v7, v4, v7
	v_mbcnt_lo_u32_b32 v4, v6, 0
	v_mbcnt_hi_u32_b32 v46, v7, v4
	v_cmp_eq_u32_e64 s[34:35], 0, v46
	v_cmp_ne_u64_e64 s[36:37], 0, v[6:7]
	s_and_b64 s[36:37], s[36:37], s[34:35]
	; wave barrier
	s_and_saveexec_b64 s[34:35], s[36:37]
	s_cbranch_execz .LBB24_47
; %bb.46:
	v_bcnt_u32_b32 v4, v6, 0
	v_bcnt_u32_b32 v4, v7, v4
	s_waitcnt lgkmcnt(0)
	v_add_u32_e32 v4, v44, v4
	ds_write_b32 v45, v4 offset:16
.LBB24_47:
	s_or_b64 exec, exec, s[34:35]
	v_lshrrev_b32_e32 v4, s80, v15
	v_and_b32_e32 v49, s88, v4
	v_mul_lo_u32 v4, v49, 20
	v_lshl_add_u32 v48, v35, 2, v4
	v_and_b32_e32 v4, 1, v49
	v_lshl_add_u64 v[6:7], v[4:5], 0, -1
	v_cmp_ne_u32_e64 s[34:35], 0, v4
	; wave barrier
	s_nop 1
	v_xor_b32_e32 v6, s34, v6
	v_xor_b32_e32 v4, s35, v7
	v_and_b32_e32 v50, exec_lo, v6
	v_lshlrev_b32_e32 v7, 30, v49
	v_mov_b32_e32 v6, v5
	v_cmp_gt_i64_e64 s[34:35], 0, v[6:7]
	v_not_b32_e32 v6, v7
	v_ashrrev_i32_e32 v6, 31, v6
	v_and_b32_e32 v4, exec_hi, v4
	v_xor_b32_e32 v7, s35, v6
	v_xor_b32_e32 v6, s34, v6
	v_and_b32_e32 v4, v4, v7
	v_and_b32_e32 v50, v50, v6
	v_lshlrev_b32_e32 v7, 29, v49
	v_mov_b32_e32 v6, v5
	v_cmp_gt_i64_e64 s[34:35], 0, v[6:7]
	v_not_b32_e32 v6, v7
	v_ashrrev_i32_e32 v6, 31, v6
	v_xor_b32_e32 v7, s35, v6
	v_xor_b32_e32 v6, s34, v6
	v_and_b32_e32 v4, v4, v7
	v_and_b32_e32 v50, v50, v6
	v_lshlrev_b32_e32 v7, 28, v49
	v_mov_b32_e32 v6, v5
	v_cmp_gt_i64_e64 s[34:35], 0, v[6:7]
	v_not_b32_e32 v6, v7
	v_ashrrev_i32_e32 v6, 31, v6
	;; [unrolled: 9-line block ×5, first 2 shown]
	v_xor_b32_e32 v7, s35, v6
	v_xor_b32_e32 v6, s34, v6
	v_and_b32_e32 v4, v4, v7
	v_lshlrev_b32_e32 v7, 24, v49
	v_and_b32_e32 v50, v50, v6
	v_mov_b32_e32 v6, v5
	v_not_b32_e32 v5, v7
	v_cmp_gt_i64_e64 s[34:35], 0, v[6:7]
	v_ashrrev_i32_e32 v5, 31, v5
	ds_read_b32 v47, v48 offset:16
	v_xor_b32_e32 v6, s35, v5
	v_xor_b32_e32 v7, s34, v5
	v_and_b32_e32 v5, v4, v6
	v_and_b32_e32 v4, v50, v7
	v_mbcnt_lo_u32_b32 v6, v4, 0
	v_mbcnt_hi_u32_b32 v49, v5, v6
	v_cmp_eq_u32_e64 s[34:35], 0, v49
	v_cmp_ne_u64_e64 s[36:37], 0, v[4:5]
	s_and_b64 s[36:37], s[36:37], s[34:35]
	; wave barrier
	s_and_saveexec_b64 s[34:35], s[36:37]
	s_cbranch_execz .LBB24_49
; %bb.48:
	v_bcnt_u32_b32 v4, v4, 0
	v_bcnt_u32_b32 v4, v5, v4
	s_waitcnt lgkmcnt(0)
	v_add_u32_e32 v4, v47, v4
	ds_write_b32 v48, v4 offset:16
.LBB24_49:
	s_or_b64 exec, exec, s[34:35]
	v_lshrrev_b32_e32 v4, s80, v18
	v_and_b32_e32 v52, s88, v4
	v_mul_lo_u32 v4, v52, 20
	v_lshl_add_u32 v51, v35, 2, v4
	v_and_b32_e32 v4, 1, v52
	v_mov_b32_e32 v5, 0
	v_lshl_add_u64 v[6:7], v[4:5], 0, -1
	v_cmp_ne_u32_e64 s[34:35], 0, v4
	; wave barrier
	s_nop 1
	v_xor_b32_e32 v6, s34, v6
	v_xor_b32_e32 v4, s35, v7
	v_and_b32_e32 v53, exec_lo, v6
	v_lshlrev_b32_e32 v7, 30, v52
	v_mov_b32_e32 v6, v5
	v_cmp_gt_i64_e64 s[34:35], 0, v[6:7]
	v_not_b32_e32 v6, v7
	v_ashrrev_i32_e32 v6, 31, v6
	v_and_b32_e32 v4, exec_hi, v4
	v_xor_b32_e32 v7, s35, v6
	v_xor_b32_e32 v6, s34, v6
	v_and_b32_e32 v4, v4, v7
	v_and_b32_e32 v53, v53, v6
	v_lshlrev_b32_e32 v7, 29, v52
	v_mov_b32_e32 v6, v5
	v_cmp_gt_i64_e64 s[34:35], 0, v[6:7]
	v_not_b32_e32 v6, v7
	v_ashrrev_i32_e32 v6, 31, v6
	v_xor_b32_e32 v7, s35, v6
	v_xor_b32_e32 v6, s34, v6
	v_and_b32_e32 v4, v4, v7
	v_and_b32_e32 v53, v53, v6
	v_lshlrev_b32_e32 v7, 28, v52
	v_mov_b32_e32 v6, v5
	v_cmp_gt_i64_e64 s[34:35], 0, v[6:7]
	v_not_b32_e32 v6, v7
	v_ashrrev_i32_e32 v6, 31, v6
	;; [unrolled: 9-line block ×6, first 2 shown]
	v_xor_b32_e32 v7, s35, v6
	v_xor_b32_e32 v6, s34, v6
	ds_read_b32 v50, v51 offset:16
	v_and_b32_e32 v6, v53, v6
	v_and_b32_e32 v7, v4, v7
	v_mbcnt_lo_u32_b32 v4, v6, 0
	v_mbcnt_hi_u32_b32 v52, v7, v4
	v_cmp_eq_u32_e64 s[34:35], 0, v52
	v_cmp_ne_u64_e64 s[36:37], 0, v[6:7]
	s_and_b64 s[36:37], s[36:37], s[34:35]
	; wave barrier
	s_and_saveexec_b64 s[34:35], s[36:37]
	s_cbranch_execz .LBB24_51
; %bb.50:
	v_bcnt_u32_b32 v4, v6, 0
	v_bcnt_u32_b32 v4, v7, v4
	s_waitcnt lgkmcnt(0)
	v_add_u32_e32 v4, v50, v4
	ds_write_b32 v51, v4 offset:16
.LBB24_51:
	s_or_b64 exec, exec, s[34:35]
	v_lshrrev_b32_e32 v4, s80, v17
	v_and_b32_e32 v55, s88, v4
	v_mul_lo_u32 v4, v55, 20
	v_lshl_add_u32 v54, v35, 2, v4
	v_and_b32_e32 v4, 1, v55
	v_lshl_add_u64 v[6:7], v[4:5], 0, -1
	v_cmp_ne_u32_e64 s[34:35], 0, v4
	; wave barrier
	s_nop 1
	v_xor_b32_e32 v6, s34, v6
	v_xor_b32_e32 v4, s35, v7
	v_and_b32_e32 v56, exec_lo, v6
	v_lshlrev_b32_e32 v7, 30, v55
	v_mov_b32_e32 v6, v5
	v_cmp_gt_i64_e64 s[34:35], 0, v[6:7]
	v_not_b32_e32 v6, v7
	v_ashrrev_i32_e32 v6, 31, v6
	v_and_b32_e32 v4, exec_hi, v4
	v_xor_b32_e32 v7, s35, v6
	v_xor_b32_e32 v6, s34, v6
	v_and_b32_e32 v4, v4, v7
	v_and_b32_e32 v56, v56, v6
	v_lshlrev_b32_e32 v7, 29, v55
	v_mov_b32_e32 v6, v5
	v_cmp_gt_i64_e64 s[34:35], 0, v[6:7]
	v_not_b32_e32 v6, v7
	v_ashrrev_i32_e32 v6, 31, v6
	v_xor_b32_e32 v7, s35, v6
	v_xor_b32_e32 v6, s34, v6
	v_and_b32_e32 v4, v4, v7
	v_and_b32_e32 v56, v56, v6
	v_lshlrev_b32_e32 v7, 28, v55
	v_mov_b32_e32 v6, v5
	v_cmp_gt_i64_e64 s[34:35], 0, v[6:7]
	v_not_b32_e32 v6, v7
	v_ashrrev_i32_e32 v6, 31, v6
	;; [unrolled: 9-line block ×5, first 2 shown]
	v_xor_b32_e32 v7, s35, v6
	v_xor_b32_e32 v6, s34, v6
	v_and_b32_e32 v4, v4, v7
	v_lshlrev_b32_e32 v7, 24, v55
	v_and_b32_e32 v56, v56, v6
	v_mov_b32_e32 v6, v5
	v_not_b32_e32 v5, v7
	v_cmp_gt_i64_e64 s[34:35], 0, v[6:7]
	v_ashrrev_i32_e32 v5, 31, v5
	ds_read_b32 v53, v54 offset:16
	v_xor_b32_e32 v6, s35, v5
	v_xor_b32_e32 v7, s34, v5
	v_and_b32_e32 v5, v4, v6
	v_and_b32_e32 v4, v56, v7
	v_mbcnt_lo_u32_b32 v6, v4, 0
	v_mbcnt_hi_u32_b32 v55, v5, v6
	v_cmp_eq_u32_e64 s[34:35], 0, v55
	v_cmp_ne_u64_e64 s[36:37], 0, v[4:5]
	s_and_b64 s[36:37], s[36:37], s[34:35]
	; wave barrier
	s_and_saveexec_b64 s[34:35], s[36:37]
	s_cbranch_execz .LBB24_53
; %bb.52:
	v_bcnt_u32_b32 v4, v4, 0
	v_bcnt_u32_b32 v4, v5, v4
	s_waitcnt lgkmcnt(0)
	v_add_u32_e32 v4, v53, v4
	ds_write_b32 v54, v4 offset:16
.LBB24_53:
	s_or_b64 exec, exec, s[34:35]
	v_lshrrev_b32_e32 v4, s80, v20
	v_and_b32_e32 v58, s88, v4
	v_mul_lo_u32 v4, v58, 20
	v_lshl_add_u32 v57, v35, 2, v4
	v_and_b32_e32 v4, 1, v58
	v_mov_b32_e32 v5, 0
	v_lshl_add_u64 v[6:7], v[4:5], 0, -1
	v_cmp_ne_u32_e64 s[34:35], 0, v4
	; wave barrier
	s_nop 1
	v_xor_b32_e32 v6, s34, v6
	v_xor_b32_e32 v4, s35, v7
	v_and_b32_e32 v59, exec_lo, v6
	v_lshlrev_b32_e32 v7, 30, v58
	v_mov_b32_e32 v6, v5
	v_cmp_gt_i64_e64 s[34:35], 0, v[6:7]
	v_not_b32_e32 v6, v7
	v_ashrrev_i32_e32 v6, 31, v6
	v_and_b32_e32 v4, exec_hi, v4
	v_xor_b32_e32 v7, s35, v6
	v_xor_b32_e32 v6, s34, v6
	v_and_b32_e32 v4, v4, v7
	v_and_b32_e32 v59, v59, v6
	v_lshlrev_b32_e32 v7, 29, v58
	v_mov_b32_e32 v6, v5
	v_cmp_gt_i64_e64 s[34:35], 0, v[6:7]
	v_not_b32_e32 v6, v7
	v_ashrrev_i32_e32 v6, 31, v6
	v_xor_b32_e32 v7, s35, v6
	v_xor_b32_e32 v6, s34, v6
	v_and_b32_e32 v4, v4, v7
	v_and_b32_e32 v59, v59, v6
	v_lshlrev_b32_e32 v7, 28, v58
	v_mov_b32_e32 v6, v5
	v_cmp_gt_i64_e64 s[34:35], 0, v[6:7]
	v_not_b32_e32 v6, v7
	v_ashrrev_i32_e32 v6, 31, v6
	;; [unrolled: 9-line block ×6, first 2 shown]
	v_xor_b32_e32 v7, s35, v6
	v_xor_b32_e32 v6, s34, v6
	ds_read_b32 v56, v57 offset:16
	v_and_b32_e32 v6, v59, v6
	v_and_b32_e32 v7, v4, v7
	v_mbcnt_lo_u32_b32 v4, v6, 0
	v_mbcnt_hi_u32_b32 v58, v7, v4
	v_cmp_eq_u32_e64 s[34:35], 0, v58
	v_cmp_ne_u64_e64 s[36:37], 0, v[6:7]
	s_and_b64 s[36:37], s[36:37], s[34:35]
	; wave barrier
	s_and_saveexec_b64 s[34:35], s[36:37]
	s_cbranch_execz .LBB24_55
; %bb.54:
	v_bcnt_u32_b32 v4, v6, 0
	v_bcnt_u32_b32 v4, v7, v4
	s_waitcnt lgkmcnt(0)
	v_add_u32_e32 v4, v56, v4
	ds_write_b32 v57, v4 offset:16
.LBB24_55:
	s_or_b64 exec, exec, s[34:35]
	v_lshrrev_b32_e32 v4, s80, v19
	v_and_b32_e32 v61, s88, v4
	v_mul_lo_u32 v4, v61, 20
	v_lshl_add_u32 v60, v35, 2, v4
	v_and_b32_e32 v4, 1, v61
	v_lshl_add_u64 v[6:7], v[4:5], 0, -1
	v_cmp_ne_u32_e64 s[34:35], 0, v4
	; wave barrier
	s_nop 1
	v_xor_b32_e32 v6, s34, v6
	v_xor_b32_e32 v4, s35, v7
	v_and_b32_e32 v62, exec_lo, v6
	v_lshlrev_b32_e32 v7, 30, v61
	v_mov_b32_e32 v6, v5
	v_cmp_gt_i64_e64 s[34:35], 0, v[6:7]
	v_not_b32_e32 v6, v7
	v_ashrrev_i32_e32 v6, 31, v6
	v_and_b32_e32 v4, exec_hi, v4
	v_xor_b32_e32 v7, s35, v6
	v_xor_b32_e32 v6, s34, v6
	v_and_b32_e32 v4, v4, v7
	v_and_b32_e32 v62, v62, v6
	v_lshlrev_b32_e32 v7, 29, v61
	v_mov_b32_e32 v6, v5
	v_cmp_gt_i64_e64 s[34:35], 0, v[6:7]
	v_not_b32_e32 v6, v7
	v_ashrrev_i32_e32 v6, 31, v6
	v_xor_b32_e32 v7, s35, v6
	v_xor_b32_e32 v6, s34, v6
	v_and_b32_e32 v4, v4, v7
	v_and_b32_e32 v62, v62, v6
	v_lshlrev_b32_e32 v7, 28, v61
	v_mov_b32_e32 v6, v5
	v_cmp_gt_i64_e64 s[34:35], 0, v[6:7]
	v_not_b32_e32 v6, v7
	v_ashrrev_i32_e32 v6, 31, v6
	;; [unrolled: 9-line block ×5, first 2 shown]
	v_xor_b32_e32 v7, s35, v6
	v_xor_b32_e32 v6, s34, v6
	v_and_b32_e32 v4, v4, v7
	v_lshlrev_b32_e32 v7, 24, v61
	v_and_b32_e32 v62, v62, v6
	v_mov_b32_e32 v6, v5
	v_not_b32_e32 v5, v7
	v_cmp_gt_i64_e64 s[34:35], 0, v[6:7]
	v_ashrrev_i32_e32 v5, 31, v5
	ds_read_b32 v59, v60 offset:16
	v_xor_b32_e32 v6, s35, v5
	v_xor_b32_e32 v7, s34, v5
	v_and_b32_e32 v5, v4, v6
	v_and_b32_e32 v4, v62, v7
	v_mbcnt_lo_u32_b32 v6, v4, 0
	v_mbcnt_hi_u32_b32 v61, v5, v6
	v_cmp_eq_u32_e64 s[34:35], 0, v61
	v_cmp_ne_u64_e64 s[36:37], 0, v[4:5]
	s_and_b64 s[36:37], s[36:37], s[34:35]
	; wave barrier
	s_and_saveexec_b64 s[34:35], s[36:37]
	s_cbranch_execz .LBB24_57
; %bb.56:
	v_bcnt_u32_b32 v4, v4, 0
	v_bcnt_u32_b32 v4, v5, v4
	s_waitcnt lgkmcnt(0)
	v_add_u32_e32 v4, v59, v4
	ds_write_b32 v60, v4 offset:16
.LBB24_57:
	s_or_b64 exec, exec, s[34:35]
	v_lshrrev_b32_e32 v4, s80, v22
	v_and_b32_e32 v64, s88, v4
	v_mul_lo_u32 v4, v64, 20
	v_lshl_add_u32 v63, v35, 2, v4
	v_and_b32_e32 v4, 1, v64
	v_mov_b32_e32 v5, 0
	v_lshl_add_u64 v[6:7], v[4:5], 0, -1
	v_cmp_ne_u32_e64 s[34:35], 0, v4
	; wave barrier
	s_nop 1
	v_xor_b32_e32 v6, s34, v6
	v_xor_b32_e32 v4, s35, v7
	v_and_b32_e32 v65, exec_lo, v6
	v_lshlrev_b32_e32 v7, 30, v64
	v_mov_b32_e32 v6, v5
	v_cmp_gt_i64_e64 s[34:35], 0, v[6:7]
	v_not_b32_e32 v6, v7
	v_ashrrev_i32_e32 v6, 31, v6
	v_and_b32_e32 v4, exec_hi, v4
	v_xor_b32_e32 v7, s35, v6
	v_xor_b32_e32 v6, s34, v6
	v_and_b32_e32 v4, v4, v7
	v_and_b32_e32 v65, v65, v6
	v_lshlrev_b32_e32 v7, 29, v64
	v_mov_b32_e32 v6, v5
	v_cmp_gt_i64_e64 s[34:35], 0, v[6:7]
	v_not_b32_e32 v6, v7
	v_ashrrev_i32_e32 v6, 31, v6
	v_xor_b32_e32 v7, s35, v6
	v_xor_b32_e32 v6, s34, v6
	v_and_b32_e32 v4, v4, v7
	v_and_b32_e32 v65, v65, v6
	v_lshlrev_b32_e32 v7, 28, v64
	v_mov_b32_e32 v6, v5
	v_cmp_gt_i64_e64 s[34:35], 0, v[6:7]
	v_not_b32_e32 v6, v7
	v_ashrrev_i32_e32 v6, 31, v6
	;; [unrolled: 9-line block ×6, first 2 shown]
	v_xor_b32_e32 v7, s35, v6
	v_xor_b32_e32 v6, s34, v6
	ds_read_b32 v62, v63 offset:16
	v_and_b32_e32 v6, v65, v6
	v_and_b32_e32 v7, v4, v7
	v_mbcnt_lo_u32_b32 v4, v6, 0
	v_mbcnt_hi_u32_b32 v64, v7, v4
	v_cmp_eq_u32_e64 s[34:35], 0, v64
	v_cmp_ne_u64_e64 s[36:37], 0, v[6:7]
	s_and_b64 s[36:37], s[36:37], s[34:35]
	; wave barrier
	s_and_saveexec_b64 s[34:35], s[36:37]
	s_cbranch_execz .LBB24_59
; %bb.58:
	v_bcnt_u32_b32 v4, v6, 0
	v_bcnt_u32_b32 v4, v7, v4
	s_waitcnt lgkmcnt(0)
	v_add_u32_e32 v4, v62, v4
	ds_write_b32 v63, v4 offset:16
.LBB24_59:
	s_or_b64 exec, exec, s[34:35]
	v_lshrrev_b32_e32 v4, s80, v21
	v_and_b32_e32 v67, s88, v4
	v_mul_lo_u32 v4, v67, 20
	v_lshl_add_u32 v66, v35, 2, v4
	v_and_b32_e32 v4, 1, v67
	v_lshl_add_u64 v[6:7], v[4:5], 0, -1
	v_cmp_ne_u32_e64 s[34:35], 0, v4
	; wave barrier
	s_nop 1
	v_xor_b32_e32 v6, s34, v6
	v_xor_b32_e32 v4, s35, v7
	v_and_b32_e32 v68, exec_lo, v6
	v_lshlrev_b32_e32 v7, 30, v67
	v_mov_b32_e32 v6, v5
	v_cmp_gt_i64_e64 s[34:35], 0, v[6:7]
	v_not_b32_e32 v6, v7
	v_ashrrev_i32_e32 v6, 31, v6
	v_and_b32_e32 v4, exec_hi, v4
	v_xor_b32_e32 v7, s35, v6
	v_xor_b32_e32 v6, s34, v6
	v_and_b32_e32 v4, v4, v7
	v_and_b32_e32 v68, v68, v6
	v_lshlrev_b32_e32 v7, 29, v67
	v_mov_b32_e32 v6, v5
	v_cmp_gt_i64_e64 s[34:35], 0, v[6:7]
	v_not_b32_e32 v6, v7
	v_ashrrev_i32_e32 v6, 31, v6
	v_xor_b32_e32 v7, s35, v6
	v_xor_b32_e32 v6, s34, v6
	v_and_b32_e32 v4, v4, v7
	v_and_b32_e32 v68, v68, v6
	v_lshlrev_b32_e32 v7, 28, v67
	v_mov_b32_e32 v6, v5
	v_cmp_gt_i64_e64 s[34:35], 0, v[6:7]
	v_not_b32_e32 v6, v7
	v_ashrrev_i32_e32 v6, 31, v6
	;; [unrolled: 9-line block ×5, first 2 shown]
	v_xor_b32_e32 v7, s35, v6
	v_xor_b32_e32 v6, s34, v6
	v_and_b32_e32 v4, v4, v7
	v_lshlrev_b32_e32 v7, 24, v67
	v_and_b32_e32 v68, v68, v6
	v_mov_b32_e32 v6, v5
	v_not_b32_e32 v5, v7
	v_cmp_gt_i64_e64 s[34:35], 0, v[6:7]
	v_ashrrev_i32_e32 v5, 31, v5
	ds_read_b32 v65, v66 offset:16
	v_xor_b32_e32 v6, s35, v5
	v_xor_b32_e32 v7, s34, v5
	v_and_b32_e32 v5, v4, v6
	v_and_b32_e32 v4, v68, v7
	v_mbcnt_lo_u32_b32 v6, v4, 0
	v_mbcnt_hi_u32_b32 v67, v5, v6
	v_cmp_eq_u32_e64 s[34:35], 0, v67
	v_cmp_ne_u64_e64 s[36:37], 0, v[4:5]
	s_and_b64 s[36:37], s[36:37], s[34:35]
	; wave barrier
	s_and_saveexec_b64 s[34:35], s[36:37]
	s_cbranch_execz .LBB24_61
; %bb.60:
	v_bcnt_u32_b32 v4, v4, 0
	v_bcnt_u32_b32 v4, v5, v4
	s_waitcnt lgkmcnt(0)
	v_add_u32_e32 v4, v65, v4
	ds_write_b32 v66, v4 offset:16
.LBB24_61:
	s_or_b64 exec, exec, s[34:35]
	v_lshrrev_b32_e32 v4, s80, v24
	v_and_b32_e32 v70, s88, v4
	v_mul_lo_u32 v4, v70, 20
	v_lshl_add_u32 v69, v35, 2, v4
	v_and_b32_e32 v4, 1, v70
	v_mov_b32_e32 v5, 0
	v_lshl_add_u64 v[6:7], v[4:5], 0, -1
	v_cmp_ne_u32_e64 s[34:35], 0, v4
	; wave barrier
	s_nop 1
	v_xor_b32_e32 v6, s34, v6
	v_xor_b32_e32 v4, s35, v7
	v_and_b32_e32 v71, exec_lo, v6
	v_lshlrev_b32_e32 v7, 30, v70
	v_mov_b32_e32 v6, v5
	v_cmp_gt_i64_e64 s[34:35], 0, v[6:7]
	v_not_b32_e32 v6, v7
	v_ashrrev_i32_e32 v6, 31, v6
	v_and_b32_e32 v4, exec_hi, v4
	v_xor_b32_e32 v7, s35, v6
	v_xor_b32_e32 v6, s34, v6
	v_and_b32_e32 v4, v4, v7
	v_and_b32_e32 v71, v71, v6
	v_lshlrev_b32_e32 v7, 29, v70
	v_mov_b32_e32 v6, v5
	v_cmp_gt_i64_e64 s[34:35], 0, v[6:7]
	v_not_b32_e32 v6, v7
	v_ashrrev_i32_e32 v6, 31, v6
	v_xor_b32_e32 v7, s35, v6
	v_xor_b32_e32 v6, s34, v6
	v_and_b32_e32 v4, v4, v7
	v_and_b32_e32 v71, v71, v6
	v_lshlrev_b32_e32 v7, 28, v70
	v_mov_b32_e32 v6, v5
	v_cmp_gt_i64_e64 s[34:35], 0, v[6:7]
	v_not_b32_e32 v6, v7
	v_ashrrev_i32_e32 v6, 31, v6
	;; [unrolled: 9-line block ×6, first 2 shown]
	v_xor_b32_e32 v7, s35, v6
	v_xor_b32_e32 v6, s34, v6
	ds_read_b32 v68, v69 offset:16
	v_and_b32_e32 v6, v71, v6
	v_and_b32_e32 v7, v4, v7
	v_mbcnt_lo_u32_b32 v4, v6, 0
	v_mbcnt_hi_u32_b32 v70, v7, v4
	v_cmp_eq_u32_e64 s[34:35], 0, v70
	v_cmp_ne_u64_e64 s[36:37], 0, v[6:7]
	s_and_b64 s[36:37], s[36:37], s[34:35]
	; wave barrier
	s_and_saveexec_b64 s[34:35], s[36:37]
	s_cbranch_execz .LBB24_63
; %bb.62:
	v_bcnt_u32_b32 v4, v6, 0
	v_bcnt_u32_b32 v4, v7, v4
	s_waitcnt lgkmcnt(0)
	v_add_u32_e32 v4, v68, v4
	ds_write_b32 v69, v4 offset:16
.LBB24_63:
	s_or_b64 exec, exec, s[34:35]
	v_lshrrev_b32_e32 v4, s80, v23
	v_and_b32_e32 v72, s88, v4
	v_mul_lo_u32 v4, v72, 20
	v_lshl_add_u32 v35, v35, 2, v4
	v_and_b32_e32 v4, 1, v72
	v_lshl_add_u64 v[6:7], v[4:5], 0, -1
	v_cmp_ne_u32_e64 s[34:35], 0, v4
	; wave barrier
	s_nop 1
	v_xor_b32_e32 v6, s34, v6
	v_xor_b32_e32 v4, s35, v7
	v_and_b32_e32 v73, exec_lo, v6
	v_lshlrev_b32_e32 v7, 30, v72
	v_mov_b32_e32 v6, v5
	v_cmp_gt_i64_e64 s[34:35], 0, v[6:7]
	v_not_b32_e32 v6, v7
	v_ashrrev_i32_e32 v6, 31, v6
	v_and_b32_e32 v4, exec_hi, v4
	v_xor_b32_e32 v7, s35, v6
	v_xor_b32_e32 v6, s34, v6
	v_and_b32_e32 v4, v4, v7
	v_and_b32_e32 v73, v73, v6
	v_lshlrev_b32_e32 v7, 29, v72
	v_mov_b32_e32 v6, v5
	v_cmp_gt_i64_e64 s[34:35], 0, v[6:7]
	v_not_b32_e32 v6, v7
	v_ashrrev_i32_e32 v6, 31, v6
	v_xor_b32_e32 v7, s35, v6
	v_xor_b32_e32 v6, s34, v6
	v_and_b32_e32 v4, v4, v7
	v_and_b32_e32 v73, v73, v6
	v_lshlrev_b32_e32 v7, 28, v72
	v_mov_b32_e32 v6, v5
	v_cmp_gt_i64_e64 s[34:35], 0, v[6:7]
	v_not_b32_e32 v6, v7
	v_ashrrev_i32_e32 v6, 31, v6
	;; [unrolled: 9-line block ×5, first 2 shown]
	v_xor_b32_e32 v7, s35, v6
	v_xor_b32_e32 v6, s34, v6
	v_and_b32_e32 v4, v4, v7
	v_lshlrev_b32_e32 v7, 24, v72
	v_and_b32_e32 v73, v73, v6
	v_mov_b32_e32 v6, v5
	v_not_b32_e32 v5, v7
	v_cmp_gt_i64_e64 s[34:35], 0, v[6:7]
	v_ashrrev_i32_e32 v5, 31, v5
	ds_read_b32 v71, v35 offset:16
	v_xor_b32_e32 v6, s35, v5
	v_xor_b32_e32 v7, s34, v5
	v_and_b32_e32 v5, v4, v6
	v_and_b32_e32 v4, v73, v7
	v_mbcnt_lo_u32_b32 v6, v4, 0
	v_mbcnt_hi_u32_b32 v72, v5, v6
	v_cmp_eq_u32_e64 s[34:35], 0, v72
	v_cmp_ne_u64_e64 s[36:37], 0, v[4:5]
	s_and_b64 s[36:37], s[36:37], s[34:35]
	; wave barrier
	s_and_saveexec_b64 s[34:35], s[36:37]
	s_cbranch_execz .LBB24_65
; %bb.64:
	v_bcnt_u32_b32 v4, v4, 0
	v_bcnt_u32_b32 v4, v5, v4
	s_waitcnt lgkmcnt(0)
	v_add_u32_e32 v4, v71, v4
	ds_write_b32 v35, v4 offset:16
.LBB24_65:
	s_or_b64 exec, exec, s[34:35]
	; wave barrier
	s_waitcnt lgkmcnt(0)
	s_barrier
	ds_read2_b32 v[6:7], v25 offset0:4 offset1:5
	ds_read2_b32 v[4:5], v25 offset0:6 offset1:7
	ds_read_b32 v73, v25 offset:32
	s_waitcnt lgkmcnt(1)
	v_add3_u32 v74, v7, v6, v4
	s_waitcnt lgkmcnt(0)
	v_add3_u32 v73, v74, v5, v73
	v_and_b32_e32 v74, 15, v14
	v_cmp_ne_u32_e64 s[34:35], 0, v74
	v_mov_b32_dpp v75, v73 row_shr:1 row_mask:0xf bank_mask:0xf
	s_nop 0
	v_cndmask_b32_e64 v75, 0, v75, s[34:35]
	v_add_u32_e32 v73, v75, v73
	v_cmp_lt_u32_e64 s[34:35], 1, v74
	s_nop 0
	v_mov_b32_dpp v75, v73 row_shr:2 row_mask:0xf bank_mask:0xf
	v_cndmask_b32_e64 v75, 0, v75, s[34:35]
	v_add_u32_e32 v73, v73, v75
	v_cmp_lt_u32_e64 s[34:35], 3, v74
	s_nop 0
	v_mov_b32_dpp v75, v73 row_shr:4 row_mask:0xf bank_mask:0xf
	;; [unrolled: 5-line block ×3, first 2 shown]
	v_cndmask_b32_e64 v74, 0, v75, s[34:35]
	v_add_u32_e32 v73, v73, v74
	v_bfe_i32 v75, v14, 4, 1
	v_cmp_lt_u32_e64 s[34:35], 31, v14
	v_mov_b32_dpp v74, v73 row_bcast:15 row_mask:0xf bank_mask:0xf
	v_and_b32_e32 v74, v75, v74
	v_add_u32_e32 v73, v73, v74
	v_and_b32_e32 v75, 0x3c0, v2
	v_min_u32_e32 v75, 0xc0, v75
	v_mov_b32_dpp v74, v73 row_bcast:31 row_mask:0xf bank_mask:0xf
	v_cndmask_b32_e64 v74, 0, v74, s[34:35]
	v_or_b32_e32 v75, 63, v75
	v_add_u32_e32 v73, v73, v74
	v_lshrrev_b32_e32 v74, 6, v2
	v_cmp_eq_u32_e64 s[34:35], v2, v75
	s_and_saveexec_b64 s[36:37], s[34:35]
; %bb.66:
	v_lshlrev_b32_e32 v75, 2, v74
	ds_write_b32 v75, v73
; %bb.67:
	s_or_b64 exec, exec, s[36:37]
	v_cmp_gt_u32_e64 s[34:35], 4, v2
	s_waitcnt lgkmcnt(0)
	s_barrier
	s_and_saveexec_b64 s[36:37], s[34:35]
	s_cbranch_execz .LBB24_69
; %bb.68:
	v_lshlrev_b32_e32 v75, 2, v2
	ds_read_b32 v76, v75
	v_and_b32_e32 v77, 3, v14
	v_cmp_ne_u32_e64 s[34:35], 0, v77
	s_waitcnt lgkmcnt(0)
	v_mov_b32_dpp v78, v76 row_shr:1 row_mask:0xf bank_mask:0xf
	v_cndmask_b32_e64 v78, 0, v78, s[34:35]
	v_add_u32_e32 v76, v78, v76
	v_cmp_lt_u32_e64 s[34:35], 1, v77
	s_nop 0
	v_mov_b32_dpp v78, v76 row_shr:2 row_mask:0xf bank_mask:0xf
	v_cndmask_b32_e64 v77, 0, v78, s[34:35]
	v_add_u32_e32 v76, v76, v77
	ds_write_b32 v75, v76
.LBB24_69:
	s_or_b64 exec, exec, s[36:37]
	v_cmp_lt_u32_e64 s[34:35], 63, v2
	v_mov_b32_e32 v75, 0
	s_waitcnt lgkmcnt(0)
	s_barrier
	s_and_saveexec_b64 s[36:37], s[34:35]
; %bb.70:
	v_lshl_add_u32 v74, v74, 2, -4
	ds_read_b32 v75, v74
; %bb.71:
	s_or_b64 exec, exec, s[36:37]
	v_add_u32_e32 v74, -1, v14
	v_and_b32_e32 v76, 64, v14
	v_cmp_lt_i32_e64 s[34:35], v74, v76
	s_waitcnt lgkmcnt(0)
	v_add_u32_e32 v73, v75, v73
	v_cndmask_b32_e64 v74, v74, v14, s[34:35]
	v_lshlrev_b32_e32 v74, 2, v74
	ds_bpermute_b32 v73, v74, v73
	v_cmp_eq_u32_e64 s[34:35], 0, v14
	s_waitcnt lgkmcnt(0)
	s_nop 0
	v_cndmask_b32_e64 v73, v73, v75, s[34:35]
	v_cmp_ne_u32_e64 s[34:35], 0, v2
	s_nop 1
	v_cndmask_b32_e64 v73, 0, v73, s[34:35]
	v_add_u32_e32 v6, v73, v6
	v_add_u32_e32 v7, v6, v7
	;; [unrolled: 1-line block ×4, first 2 shown]
	ds_write2_b32 v25, v73, v6 offset0:4 offset1:5
	ds_write2_b32 v25, v7, v4 offset0:6 offset1:7
	ds_write_b32 v25, v5 offset:32
	s_waitcnt lgkmcnt(0)
	s_barrier
	ds_read_b32 v6, v48 offset:16
	ds_read_b32 v7, v51 offset:16
	ds_read_b32 v48, v54 offset:16
	ds_read_b32 v51, v57 offset:16
	ds_read_b32 v54, v60 offset:16
	ds_read_b32 v57, v63 offset:16
	ds_read_b32 v60, v66 offset:16
	ds_read_b32 v63, v69 offset:16
	ds_read_b32 v66, v35 offset:16
	ds_read_b32 v27, v27 offset:16
	ds_read_b32 v29, v29 offset:16
	ds_read_b32 v32, v32 offset:16
	ds_read_b32 v35, v36 offset:16
	ds_read_b32 v69, v39 offset:16
	ds_read_b32 v73, v42 offset:16
	ds_read_b32 v74, v45 offset:16
	ds_read_b32 v4, v25 offset:16
	v_add_u32_e32 v25, 1, v2
	s_movk_i32 s34, 0x100
	v_cmp_ne_u32_e64 s[34:35], s34, v25
	v_mov_b32_e32 v5, 0x1000
	s_and_saveexec_b64 s[36:37], s[34:35]
; %bb.72:
	v_mul_u32_u24_e32 v5, 20, v25
	ds_read_b32 v5, v5 offset:16
; %bb.73:
	s_or_b64 exec, exec, s[36:37]
	s_waitcnt lgkmcnt(7)
	v_add_u32_e32 v45, v27, v26
	s_waitcnt lgkmcnt(6)
	v_add3_u32 v42, v30, v28, v29
	s_waitcnt lgkmcnt(5)
	v_add3_u32 v39, v33, v31, v32
	v_add3_u32 v32, v49, v47, v6
	v_lshlrev_b32_e32 v6, 2, v45
	s_waitcnt lgkmcnt(0)
	s_barrier
	ds_write_b32 v6, v9 offset:2048
	v_lshlrev_b32_e32 v6, 2, v42
	v_add3_u32 v36, v37, v34, v35
	ds_write_b32 v6, v8 offset:2048
	v_lshlrev_b32_e32 v6, 2, v39
	v_add3_u32 v35, v40, v38, v69
	ds_write_b32 v6, v11 offset:2048
	v_lshlrev_b32_e32 v6, 2, v36
	v_add3_u32 v34, v43, v41, v73
	ds_write_b32 v6, v10 offset:2048
	v_lshlrev_b32_e32 v6, 2, v35
	v_add3_u32 v33, v46, v44, v74
	ds_write_b32 v6, v13 offset:2048
	v_lshlrev_b32_e32 v6, 2, v34
	ds_write_b32 v6, v12 offset:2048
	v_lshlrev_b32_e32 v6, 2, v33
	v_add3_u32 v31, v52, v50, v7
	ds_write_b32 v6, v16 offset:2048
	v_lshlrev_b32_e32 v6, 2, v32
	v_add3_u32 v30, v55, v53, v48
	;; [unrolled: 3-line block ×8, first 2 shown]
	ds_write_b32 v6, v21 offset:2048
	v_lshlrev_b32_e32 v6, 2, v25
	ds_write_b32 v6, v24 offset:2048
	v_lshlrev_b32_e32 v6, 2, v7
	ds_write_b32 v6, v23 offset:2048
	v_sub_u32_e32 v6, v5, v4
	v_lshl_add_u32 v10, s2, 8, v2
	v_mov_b32_e32 v11, 0
	v_lshl_add_u64 v[8:9], v[10:11], 2, s[84:85]
	v_or_b32_e32 v5, 2.0, v6
	s_mov_b64 s[36:37], 0
	s_brev_b32 s42, -4
	s_mov_b32 s43, s3
	v_mov_b32_e32 v15, 0
	s_waitcnt lgkmcnt(0)
	s_barrier
	global_store_dword v[8:9], v5, off sc1
                                        ; implicit-def: $sgpr34_sgpr35
	s_branch .LBB24_76
.LBB24_74:                              ;   in Loop: Header=BB24_76 Depth=1
	s_or_b64 exec, exec, s[40:41]
.LBB24_75:                              ;   in Loop: Header=BB24_76 Depth=1
	s_or_b64 exec, exec, s[38:39]
	v_and_b32_e32 v10, 0x3fffffff, v5
	v_add_u32_e32 v15, v10, v15
	v_cmp_gt_i32_e64 s[34:35], -2.0, v5
	s_and_b64 s[38:39], exec, s[34:35]
	s_or_b64 s[36:37], s[38:39], s[36:37]
	s_andn2_b64 exec, exec, s[36:37]
	s_cbranch_execz .LBB24_81
.LBB24_76:                              ; =>This Loop Header: Depth=1
                                        ;     Child Loop BB24_79 Depth 2
	s_or_b64 s[34:35], s[34:35], exec
	s_cmp_eq_u32 s43, 0
	s_cbranch_scc1 .LBB24_80
; %bb.77:                               ;   in Loop: Header=BB24_76 Depth=1
	s_add_i32 s43, s43, -1
	v_lshl_add_u32 v10, s43, 8, v2
	v_lshl_add_u64 v[12:13], v[10:11], 2, s[84:85]
	global_load_dword v5, v[12:13], off sc1
	s_waitcnt vmcnt(0)
	v_cmp_gt_u32_e64 s[34:35], 2.0, v5
	s_and_saveexec_b64 s[38:39], s[34:35]
	s_cbranch_execz .LBB24_75
; %bb.78:                               ;   in Loop: Header=BB24_76 Depth=1
	s_mov_b64 s[40:41], 0
.LBB24_79:                              ;   Parent Loop BB24_76 Depth=1
                                        ; =>  This Inner Loop Header: Depth=2
	global_load_dword v5, v[12:13], off sc1
	s_waitcnt vmcnt(0)
	v_cmp_lt_u32_e64 s[34:35], s42, v5
	s_or_b64 s[40:41], s[34:35], s[40:41]
	s_andn2_b64 exec, exec, s[40:41]
	s_cbranch_execnz .LBB24_79
	s_branch .LBB24_74
.LBB24_80:                              ;   in Loop: Header=BB24_76 Depth=1
                                        ; implicit-def: $sgpr43
	s_and_b64 s[38:39], exec, s[34:35]
	s_or_b64 s[36:37], s[38:39], s[36:37]
	s_andn2_b64 exec, exec, s[36:37]
	s_cbranch_execnz .LBB24_76
.LBB24_81:
	s_or_b64 exec, exec, s[36:37]
	v_add_u32_e32 v5, v15, v6
	v_or_b32_e32 v5, 0x80000000, v5
	v_lshlrev_b32_e32 v10, 3, v2
	global_store_dword v[8:9], v5, off sc1
	global_load_dwordx2 v[8:9], v10, s[76:77]
	v_sub_co_u32_e64 v12, s[34:35], v15, v4
	v_mov_b32_e32 v5, 0
	s_nop 0
	v_subb_co_u32_e64 v13, s[34:35], 0, 0, s[34:35]
	v_cmp_gt_u32_e64 s[34:35], s86, v2
	s_waitcnt vmcnt(0)
	v_lshl_add_u64 v[8:9], v[12:13], 0, v[8:9]
	ds_write_b64 v10, v[8:9]
	s_waitcnt lgkmcnt(0)
	s_barrier
	s_and_saveexec_b64 s[36:37], s[34:35]
	s_cbranch_execz .LBB24_83
; %bb.82:
	v_lshlrev_b32_e32 v8, 2, v2
	v_sub_u32_e32 v9, v10, v8
	ds_read_b32 v9, v9 offset:2048
	s_waitcnt lgkmcnt(0)
	v_lshrrev_b32_e32 v11, s80, v9
	v_and_b32_e32 v11, s88, v11
	v_lshlrev_b32_e32 v11, 3, v11
	ds_read_b64 v[12:13], v11
	v_xor_b32_e32 v11, 0x80000000, v9
	v_mov_b32_e32 v9, v5
	s_waitcnt lgkmcnt(0)
	v_lshl_add_u64 v[12:13], v[12:13], 2, s[70:71]
	v_lshl_add_u64 v[8:9], v[12:13], 0, v[8:9]
	global_store_dword v[8:9], v11, off
.LBB24_83:
	s_or_b64 exec, exec, s[36:37]
	v_add_u32_e32 v8, 0x100, v2
	v_cmp_gt_u32_e64 s[36:37], s86, v8
	s_and_saveexec_b64 s[38:39], s[36:37]
	s_cbranch_execz .LBB24_85
; %bb.84:
	v_lshlrev_b32_e32 v8, 2, v2
	v_sub_u32_e32 v9, v10, v8
	ds_read_b32 v9, v9 offset:3072
	s_waitcnt lgkmcnt(0)
	v_lshrrev_b32_e32 v11, s80, v9
	v_and_b32_e32 v11, s88, v11
	v_lshlrev_b32_e32 v11, 3, v11
	ds_read_b64 v[12:13], v11
	v_xor_b32_e32 v11, 0x80000000, v9
	v_mov_b32_e32 v9, 0
	s_waitcnt lgkmcnt(0)
	v_lshl_add_u64 v[12:13], v[12:13], 2, s[70:71]
	v_lshl_add_u64 v[8:9], v[12:13], 0, v[8:9]
	global_store_dword v[8:9], v11, off offset:1024
.LBB24_85:
	s_or_b64 exec, exec, s[38:39]
	v_add_u32_e32 v8, 0x200, v2
	v_cmp_gt_u32_e64 s[38:39], s86, v8
	s_and_saveexec_b64 s[40:41], s[38:39]
	s_cbranch_execz .LBB24_87
; %bb.86:
	v_lshlrev_b32_e32 v8, 2, v2
	v_sub_u32_e32 v9, v10, v8
	ds_read_b32 v9, v9 offset:4096
	s_waitcnt lgkmcnt(0)
	v_lshrrev_b32_e32 v11, s80, v9
	v_and_b32_e32 v11, s88, v11
	v_lshlrev_b32_e32 v11, 3, v11
	ds_read_b64 v[12:13], v11
	v_xor_b32_e32 v11, 0x80000000, v9
	v_mov_b32_e32 v9, 0
	s_waitcnt lgkmcnt(0)
	v_lshl_add_u64 v[12:13], v[12:13], 2, s[70:71]
	v_lshl_add_u64 v[8:9], v[12:13], 0, v[8:9]
	global_store_dword v[8:9], v11, off offset:2048
.LBB24_87:
	s_or_b64 exec, exec, s[40:41]
	v_add_u32_e32 v8, 0x300, v2
	v_cmp_gt_u32_e64 s[40:41], s86, v8
	s_and_saveexec_b64 s[42:43], s[40:41]
	s_cbranch_execz .LBB24_89
; %bb.88:
	v_lshlrev_b32_e32 v8, 2, v2
	v_sub_u32_e32 v9, v10, v8
	ds_read_b32 v9, v9 offset:5120
	s_waitcnt lgkmcnt(0)
	v_lshrrev_b32_e32 v11, s80, v9
	v_and_b32_e32 v11, s88, v11
	v_lshlrev_b32_e32 v11, 3, v11
	ds_read_b64 v[12:13], v11
	v_xor_b32_e32 v11, 0x80000000, v9
	v_mov_b32_e32 v9, 0
	s_waitcnt lgkmcnt(0)
	v_lshl_add_u64 v[12:13], v[12:13], 2, s[70:71]
	v_lshl_add_u64 v[8:9], v[12:13], 0, v[8:9]
	global_store_dword v[8:9], v11, off offset:3072
.LBB24_89:
	s_or_b64 exec, exec, s[42:43]
	v_or_b32_e32 v8, 0x400, v2
	v_cmp_gt_u32_e64 s[42:43], s86, v8
	s_and_saveexec_b64 s[44:45], s[42:43]
	s_cbranch_execz .LBB24_91
; %bb.90:
	v_lshlrev_b32_e32 v9, 2, v2
	v_sub_u32_e32 v9, v10, v9
	ds_read_b32 v9, v9 offset:6144
	v_lshlrev_b32_e32 v8, 2, v8
	s_waitcnt lgkmcnt(0)
	v_lshrrev_b32_e32 v11, s80, v9
	v_and_b32_e32 v11, s88, v11
	v_lshlrev_b32_e32 v11, 3, v11
	ds_read_b64 v[12:13], v11
	v_xor_b32_e32 v11, 0x80000000, v9
	v_mov_b32_e32 v9, 0
	s_waitcnt lgkmcnt(0)
	v_lshl_add_u64 v[12:13], v[12:13], 2, s[70:71]
	v_lshl_add_u64 v[8:9], v[12:13], 0, v[8:9]
	global_store_dword v[8:9], v11, off
.LBB24_91:
	s_or_b64 exec, exec, s[44:45]
	v_add_u32_e32 v8, 0x500, v2
	v_cmp_gt_u32_e64 s[44:45], s86, v8
	s_and_saveexec_b64 s[46:47], s[44:45]
	s_cbranch_execz .LBB24_93
; %bb.92:
	v_lshlrev_b32_e32 v9, 2, v2
	v_sub_u32_e32 v9, v10, v9
	ds_read_b32 v9, v9 offset:7168
	v_lshlrev_b32_e32 v8, 2, v8
	s_waitcnt lgkmcnt(0)
	v_lshrrev_b32_e32 v11, s80, v9
	v_and_b32_e32 v11, s88, v11
	v_lshlrev_b32_e32 v11, 3, v11
	ds_read_b64 v[12:13], v11
	v_xor_b32_e32 v11, 0x80000000, v9
	v_mov_b32_e32 v9, 0
	s_waitcnt lgkmcnt(0)
	v_lshl_add_u64 v[12:13], v[12:13], 2, s[70:71]
	v_lshl_add_u64 v[8:9], v[12:13], 0, v[8:9]
	global_store_dword v[8:9], v11, off
.LBB24_93:
	s_or_b64 exec, exec, s[46:47]
	v_add_u32_e32 v8, 0x600, v2
	;; [unrolled: 22-line block ×3, first 2 shown]
	v_cmp_gt_u32_e64 s[48:49], s86, v8
	s_and_saveexec_b64 s[50:51], s[48:49]
	s_cbranch_execz .LBB24_97
; %bb.96:
	v_lshlrev_b32_e32 v9, 2, v2
	ds_read_b32 v9, v9 offset:9216
	v_lshlrev_b32_e32 v8, 2, v8
	s_waitcnt lgkmcnt(0)
	v_lshrrev_b32_e32 v11, s80, v9
	v_and_b32_e32 v11, s88, v11
	v_lshlrev_b32_e32 v11, 3, v11
	ds_read_b64 v[12:13], v11
	v_xor_b32_e32 v11, 0x80000000, v9
	v_mov_b32_e32 v9, 0
	s_waitcnt lgkmcnt(0)
	v_lshl_add_u64 v[12:13], v[12:13], 2, s[70:71]
	v_lshl_add_u64 v[8:9], v[12:13], 0, v[8:9]
	global_store_dword v[8:9], v11, off
.LBB24_97:
	s_or_b64 exec, exec, s[50:51]
	v_or_b32_e32 v11, 0x800, v2
	v_cmp_gt_u32_e64 s[50:51], s86, v11
	s_and_saveexec_b64 s[52:53], s[50:51]
	s_cbranch_execz .LBB24_99
; %bb.98:
	v_lshlrev_b32_e32 v8, 2, v2
	ds_read_b32 v13, v8 offset:10240
	v_lshlrev_b32_e32 v12, 2, v11
	s_waitcnt lgkmcnt(0)
	v_lshrrev_b32_e32 v8, s80, v13
	v_and_b32_e32 v8, s88, v8
	v_lshlrev_b32_e32 v8, 3, v8
	ds_read_b64 v[8:9], v8
	v_xor_b32_e32 v15, 0x80000000, v13
	v_mov_b32_e32 v13, 0
	s_waitcnt lgkmcnt(0)
	v_lshl_add_u64 v[8:9], v[8:9], 2, s[70:71]
	v_lshl_add_u64 v[8:9], v[8:9], 0, v[12:13]
	global_store_dword v[8:9], v15, off
.LBB24_99:
	s_or_b64 exec, exec, s[52:53]
	v_add_u32_e32 v12, 0x900, v2
	v_cmp_gt_u32_e64 s[52:53], s86, v12
	s_and_saveexec_b64 s[54:55], s[52:53]
	s_cbranch_execz .LBB24_101
; %bb.100:
	v_lshlrev_b32_e32 v8, 2, v2
	ds_read_b32 v13, v8 offset:11264
	v_lshlrev_b32_e32 v16, 2, v12
	v_mov_b32_e32 v17, 0
	s_waitcnt lgkmcnt(0)
	v_lshrrev_b32_e32 v8, s80, v13
	v_and_b32_e32 v8, s88, v8
	v_lshlrev_b32_e32 v8, 3, v8
	ds_read_b64 v[8:9], v8
	v_xor_b32_e32 v13, 0x80000000, v13
	s_waitcnt lgkmcnt(0)
	v_lshl_add_u64 v[8:9], v[8:9], 2, s[70:71]
	v_lshl_add_u64 v[8:9], v[8:9], 0, v[16:17]
	global_store_dword v[8:9], v13, off
.LBB24_101:
	s_or_b64 exec, exec, s[54:55]
	v_add_u32_e32 v13, 0xa00, v2
	v_cmp_gt_u32_e64 s[54:55], s86, v13
	s_and_saveexec_b64 s[56:57], s[54:55]
	s_cbranch_execz .LBB24_103
; %bb.102:
	v_lshlrev_b32_e32 v8, 2, v2
	ds_read_b32 v15, v8 offset:12288
	v_lshlrev_b32_e32 v16, 2, v13
	v_mov_b32_e32 v17, 0
	s_waitcnt lgkmcnt(0)
	v_lshrrev_b32_e32 v8, s80, v15
	v_and_b32_e32 v8, s88, v8
	v_lshlrev_b32_e32 v8, 3, v8
	ds_read_b64 v[8:9], v8
	v_xor_b32_e32 v15, 0x80000000, v15
	s_waitcnt lgkmcnt(0)
	v_lshl_add_u64 v[8:9], v[8:9], 2, s[70:71]
	v_lshl_add_u64 v[8:9], v[8:9], 0, v[16:17]
	global_store_dword v[8:9], v15, off
.LBB24_103:
	s_or_b64 exec, exec, s[56:57]
	v_add_u32_e32 v15, 0xb00, v2
	v_cmp_gt_u32_e64 s[56:57], s86, v15
	s_and_saveexec_b64 s[58:59], s[56:57]
	s_cbranch_execz .LBB24_105
; %bb.104:
	v_lshlrev_b32_e32 v8, 2, v2
	ds_read_b32 v17, v8 offset:13312
	v_lshlrev_b32_e32 v16, 2, v15
	s_waitcnt lgkmcnt(0)
	v_lshrrev_b32_e32 v8, s80, v17
	v_and_b32_e32 v8, s88, v8
	v_lshlrev_b32_e32 v8, 3, v8
	ds_read_b64 v[8:9], v8
	v_xor_b32_e32 v18, 0x80000000, v17
	v_mov_b32_e32 v17, 0
	s_waitcnt lgkmcnt(0)
	v_lshl_add_u64 v[8:9], v[8:9], 2, s[70:71]
	v_lshl_add_u64 v[8:9], v[8:9], 0, v[16:17]
	global_store_dword v[8:9], v18, off
.LBB24_105:
	s_or_b64 exec, exec, s[58:59]
	v_or_b32_e32 v16, 0xc00, v2
	v_cmp_gt_u32_e64 s[58:59], s86, v16
	s_and_saveexec_b64 s[60:61], s[58:59]
	s_cbranch_execz .LBB24_107
; %bb.106:
	v_lshlrev_b32_e32 v8, 2, v2
	ds_read_b32 v17, v8 offset:14336
	v_lshlrev_b32_e32 v18, 2, v16
	v_mov_b32_e32 v19, 0
	s_waitcnt lgkmcnt(0)
	v_lshrrev_b32_e32 v8, s80, v17
	v_and_b32_e32 v8, s88, v8
	v_lshlrev_b32_e32 v8, 3, v8
	ds_read_b64 v[8:9], v8
	v_xor_b32_e32 v17, 0x80000000, v17
	s_waitcnt lgkmcnt(0)
	v_lshl_add_u64 v[8:9], v[8:9], 2, s[70:71]
	v_lshl_add_u64 v[8:9], v[8:9], 0, v[18:19]
	global_store_dword v[8:9], v17, off
.LBB24_107:
	s_or_b64 exec, exec, s[60:61]
	v_add_u32_e32 v17, 0xd00, v2
	v_cmp_gt_u32_e64 s[60:61], s86, v17
	s_and_saveexec_b64 s[62:63], s[60:61]
	s_cbranch_execz .LBB24_109
; %bb.108:
	v_lshlrev_b32_e32 v8, 2, v2
	ds_read_b32 v19, v8 offset:15360
	v_lshlrev_b32_e32 v18, 2, v17
	s_waitcnt lgkmcnt(0)
	v_lshrrev_b32_e32 v8, s80, v19
	v_and_b32_e32 v8, s88, v8
	v_lshlrev_b32_e32 v8, 3, v8
	ds_read_b64 v[8:9], v8
	v_xor_b32_e32 v20, 0x80000000, v19
	v_mov_b32_e32 v19, 0
	s_waitcnt lgkmcnt(0)
	v_lshl_add_u64 v[8:9], v[8:9], 2, s[70:71]
	v_lshl_add_u64 v[8:9], v[8:9], 0, v[18:19]
	global_store_dword v[8:9], v20, off
.LBB24_109:
	s_or_b64 exec, exec, s[62:63]
	v_add_u32_e32 v18, 0xe00, v2
	v_cmp_gt_u32_e64 s[62:63], s86, v18
	s_and_saveexec_b64 s[64:65], s[62:63]
	s_cbranch_execz .LBB24_111
; %bb.110:
	v_lshlrev_b32_e32 v8, 2, v2
	ds_read_b32 v19, v8 offset:16384
	v_lshlrev_b32_e32 v20, 2, v18
	v_mov_b32_e32 v21, 0
	s_waitcnt lgkmcnt(0)
	v_lshrrev_b32_e32 v8, s80, v19
	v_and_b32_e32 v8, s88, v8
	v_lshlrev_b32_e32 v8, 3, v8
	ds_read_b64 v[8:9], v8
	v_xor_b32_e32 v19, 0x80000000, v19
	s_waitcnt lgkmcnt(0)
	v_lshl_add_u64 v[8:9], v[8:9], 2, s[70:71]
	v_lshl_add_u64 v[8:9], v[8:9], 0, v[20:21]
	global_store_dword v[8:9], v19, off
.LBB24_111:
	s_or_b64 exec, exec, s[64:65]
	v_add_u32_e32 v19, 0xf00, v2
	v_cmp_gt_u32_e64 s[64:65], s86, v19
	s_and_saveexec_b64 s[86:87], s[64:65]
	s_cbranch_execz .LBB24_113
; %bb.112:
	v_lshlrev_b32_e32 v8, 2, v2
	ds_read_b32 v21, v8 offset:17408
	v_lshlrev_b32_e32 v20, 2, v19
	s_waitcnt lgkmcnt(0)
	v_lshrrev_b32_e32 v8, s80, v21
	v_and_b32_e32 v8, s88, v8
	v_lshlrev_b32_e32 v8, 3, v8
	ds_read_b64 v[8:9], v8
	v_xor_b32_e32 v22, 0x80000000, v21
	v_mov_b32_e32 v21, 0
	s_waitcnt lgkmcnt(0)
	v_lshl_add_u64 v[8:9], v[8:9], 2, s[70:71]
	v_lshl_add_u64 v[8:9], v[8:9], 0, v[20:21]
	global_store_dword v[8:9], v22, off
.LBB24_113:
	s_or_b64 exec, exec, s[86:87]
	s_lshl_b64 s[82:83], s[82:83], 1
	s_add_u32 s82, s72, s82
	s_addc_u32 s83, s73, s83
	v_lshlrev_b32_e32 v8, 1, v14
	v_mov_b32_e32 v9, 0
	v_lshl_add_u64 v[20:21], s[82:83], 0, v[8:9]
	v_lshlrev_b32_e32 v8, 1, v3
	v_lshl_add_u64 v[8:9], v[20:21], 0, v[8:9]
                                        ; implicit-def: $vgpr47
	s_and_saveexec_b64 s[82:83], vcc
	s_xor_b64 s[82:83], exec, s[82:83]
	s_cbranch_execz .LBB24_129
; %bb.114:
	global_load_ushort v47, v[8:9], off
	s_or_b64 exec, exec, s[82:83]
                                        ; implicit-def: $vgpr48
	s_and_saveexec_b64 s[82:83], s[66:67]
	s_cbranch_execnz .LBB24_130
.LBB24_115:
	s_or_b64 exec, exec, s[82:83]
                                        ; implicit-def: $vgpr49
	s_and_saveexec_b64 s[66:67], s[4:5]
	s_cbranch_execz .LBB24_131
.LBB24_116:
	global_load_ushort v49, v[8:9], off offset:256
	s_or_b64 exec, exec, s[66:67]
                                        ; implicit-def: $vgpr50
	s_and_saveexec_b64 s[4:5], s[6:7]
	s_cbranch_execnz .LBB24_132
.LBB24_117:
	s_or_b64 exec, exec, s[4:5]
                                        ; implicit-def: $vgpr51
	s_and_saveexec_b64 s[4:5], s[8:9]
	s_cbranch_execz .LBB24_133
.LBB24_118:
	global_load_ushort v51, v[8:9], off offset:512
	s_or_b64 exec, exec, s[4:5]
                                        ; implicit-def: $vgpr52
	s_and_saveexec_b64 s[4:5], s[10:11]
	s_cbranch_execnz .LBB24_134
.LBB24_119:
	s_or_b64 exec, exec, s[4:5]
                                        ; implicit-def: $vgpr53
	s_and_saveexec_b64 s[4:5], s[12:13]
	s_cbranch_execz .LBB24_135
.LBB24_120:
	global_load_ushort v53, v[8:9], off offset:768
	s_or_b64 exec, exec, s[4:5]
                                        ; implicit-def: $vgpr54
	s_and_saveexec_b64 s[4:5], s[14:15]
	s_cbranch_execnz .LBB24_136
.LBB24_121:
	s_or_b64 exec, exec, s[4:5]
                                        ; implicit-def: $vgpr55
	s_and_saveexec_b64 s[4:5], s[16:17]
	s_cbranch_execz .LBB24_137
.LBB24_122:
	global_load_ushort v55, v[8:9], off offset:1024
	s_or_b64 exec, exec, s[4:5]
                                        ; implicit-def: $vgpr56
	s_and_saveexec_b64 s[4:5], s[18:19]
	s_cbranch_execnz .LBB24_138
.LBB24_123:
	s_or_b64 exec, exec, s[4:5]
                                        ; implicit-def: $vgpr57
	s_and_saveexec_b64 s[4:5], s[20:21]
	s_cbranch_execz .LBB24_139
.LBB24_124:
	global_load_ushort v57, v[8:9], off offset:1280
	s_or_b64 exec, exec, s[4:5]
                                        ; implicit-def: $vgpr58
	s_and_saveexec_b64 s[4:5], s[22:23]
	s_cbranch_execnz .LBB24_140
.LBB24_125:
	s_or_b64 exec, exec, s[4:5]
                                        ; implicit-def: $vgpr59
	s_and_saveexec_b64 s[4:5], s[24:25]
	s_cbranch_execz .LBB24_141
.LBB24_126:
	global_load_ushort v59, v[8:9], off offset:1536
	s_or_b64 exec, exec, s[4:5]
                                        ; implicit-def: $vgpr60
	s_and_saveexec_b64 s[4:5], s[26:27]
	s_cbranch_execnz .LBB24_142
.LBB24_127:
	s_or_b64 exec, exec, s[4:5]
                                        ; implicit-def: $vgpr61
	s_and_saveexec_b64 s[4:5], s[28:29]
	s_cbranch_execz .LBB24_143
.LBB24_128:
	global_load_ushort v61, v[8:9], off offset:1792
	s_or_b64 exec, exec, s[4:5]
                                        ; implicit-def: $vgpr62
	s_and_saveexec_b64 s[4:5], s[30:31]
	s_cbranch_execnz .LBB24_144
	s_branch .LBB24_145
.LBB24_129:
	s_or_b64 exec, exec, s[82:83]
                                        ; implicit-def: $vgpr48
	s_and_saveexec_b64 s[82:83], s[66:67]
	s_cbranch_execz .LBB24_115
.LBB24_130:
	global_load_ushort v48, v[8:9], off offset:128
	s_or_b64 exec, exec, s[82:83]
                                        ; implicit-def: $vgpr49
	s_and_saveexec_b64 s[66:67], s[4:5]
	s_cbranch_execnz .LBB24_116
.LBB24_131:
	s_or_b64 exec, exec, s[66:67]
                                        ; implicit-def: $vgpr50
	s_and_saveexec_b64 s[4:5], s[6:7]
	s_cbranch_execz .LBB24_117
.LBB24_132:
	global_load_ushort v50, v[8:9], off offset:384
	s_or_b64 exec, exec, s[4:5]
                                        ; implicit-def: $vgpr51
	s_and_saveexec_b64 s[4:5], s[8:9]
	s_cbranch_execnz .LBB24_118
.LBB24_133:
	s_or_b64 exec, exec, s[4:5]
                                        ; implicit-def: $vgpr52
	s_and_saveexec_b64 s[4:5], s[10:11]
	s_cbranch_execz .LBB24_119
.LBB24_134:
	global_load_ushort v52, v[8:9], off offset:640
	s_or_b64 exec, exec, s[4:5]
                                        ; implicit-def: $vgpr53
	s_and_saveexec_b64 s[4:5], s[12:13]
	s_cbranch_execnz .LBB24_120
.LBB24_135:
	s_or_b64 exec, exec, s[4:5]
                                        ; implicit-def: $vgpr54
	s_and_saveexec_b64 s[4:5], s[14:15]
	s_cbranch_execz .LBB24_121
.LBB24_136:
	global_load_ushort v54, v[8:9], off offset:896
	s_or_b64 exec, exec, s[4:5]
                                        ; implicit-def: $vgpr55
	s_and_saveexec_b64 s[4:5], s[16:17]
	s_cbranch_execnz .LBB24_122
.LBB24_137:
	s_or_b64 exec, exec, s[4:5]
                                        ; implicit-def: $vgpr56
	s_and_saveexec_b64 s[4:5], s[18:19]
	s_cbranch_execz .LBB24_123
.LBB24_138:
	global_load_ushort v56, v[8:9], off offset:1152
	s_or_b64 exec, exec, s[4:5]
                                        ; implicit-def: $vgpr57
	s_and_saveexec_b64 s[4:5], s[20:21]
	s_cbranch_execnz .LBB24_124
.LBB24_139:
	s_or_b64 exec, exec, s[4:5]
                                        ; implicit-def: $vgpr58
	s_and_saveexec_b64 s[4:5], s[22:23]
	s_cbranch_execz .LBB24_125
.LBB24_140:
	global_load_ushort v58, v[8:9], off offset:1408
	s_or_b64 exec, exec, s[4:5]
                                        ; implicit-def: $vgpr59
	s_and_saveexec_b64 s[4:5], s[24:25]
	s_cbranch_execnz .LBB24_126
.LBB24_141:
	s_or_b64 exec, exec, s[4:5]
                                        ; implicit-def: $vgpr60
	s_and_saveexec_b64 s[4:5], s[26:27]
	s_cbranch_execz .LBB24_127
.LBB24_142:
	global_load_ushort v60, v[8:9], off offset:1664
	s_or_b64 exec, exec, s[4:5]
                                        ; implicit-def: $vgpr61
	s_and_saveexec_b64 s[4:5], s[28:29]
	s_cbranch_execnz .LBB24_128
.LBB24_143:
	s_or_b64 exec, exec, s[4:5]
                                        ; implicit-def: $vgpr62
	s_and_saveexec_b64 s[4:5], s[30:31]
	s_cbranch_execz .LBB24_145
.LBB24_144:
	global_load_ushort v62, v[8:9], off offset:1920
.LBB24_145:
	s_or_b64 exec, exec, s[4:5]
	v_mov_b32_e32 v41, 0
	v_mov_b32_e32 v46, 0
	s_and_saveexec_b64 s[4:5], s[34:35]
	s_cbranch_execz .LBB24_147
; %bb.146:
	v_lshlrev_b32_e32 v3, 2, v2
	ds_read_b32 v3, v3 offset:2048
	s_waitcnt lgkmcnt(0)
	v_lshrrev_b32_e32 v3, s80, v3
	v_and_b32_e32 v46, s88, v3
.LBB24_147:
	s_or_b64 exec, exec, s[4:5]
	s_and_saveexec_b64 s[4:5], s[36:37]
	s_cbranch_execz .LBB24_149
; %bb.148:
	v_lshlrev_b32_e32 v3, 2, v2
	ds_read_b32 v3, v3 offset:3072
	s_waitcnt lgkmcnt(0)
	v_lshrrev_b32_e32 v3, s80, v3
	v_and_b32_e32 v41, s88, v3
.LBB24_149:
	s_or_b64 exec, exec, s[4:5]
	v_mov_b32_e32 v38, 0
	v_mov_b32_e32 v44, 0
	s_and_saveexec_b64 s[4:5], s[38:39]
	s_cbranch_execz .LBB24_151
; %bb.150:
	v_lshlrev_b32_e32 v3, 2, v2
	ds_read_b32 v3, v3 offset:4096
	s_waitcnt lgkmcnt(0)
	v_lshrrev_b32_e32 v3, s80, v3
	v_and_b32_e32 v44, s88, v3
.LBB24_151:
	s_or_b64 exec, exec, s[4:5]
	s_and_saveexec_b64 s[4:5], s[40:41]
	s_cbranch_execz .LBB24_153
; %bb.152:
	v_lshlrev_b32_e32 v3, 2, v2
	ds_read_b32 v3, v3 offset:5120
	s_waitcnt lgkmcnt(0)
	v_lshrrev_b32_e32 v3, s80, v3
	v_and_b32_e32 v38, s88, v3
.LBB24_153:
	;; [unrolled: 22-line block ×8, first 2 shown]
	s_or_b64 exec, exec, s[4:5]
	v_lshlrev_b32_e32 v45, 1, v45
	v_lshlrev_b32_e32 v42, 1, v42
	;; [unrolled: 1-line block ×16, first 2 shown]
	s_barrier
	s_waitcnt vmcnt(0)
	ds_write_b16 v45, v47 offset:2048
	ds_write_b16 v42, v48 offset:2048
	;; [unrolled: 1-line block ×16, first 2 shown]
	s_waitcnt lgkmcnt(0)
	s_barrier
	s_and_saveexec_b64 s[4:5], s[34:35]
	s_cbranch_execz .LBB24_248
; %bb.178:
	v_lshlrev_b32_e32 v7, 3, v46
	ds_read_b64 v[26:27], v7
	v_lshlrev_b32_e32 v28, 1, v2
	ds_read_u16 v7, v28 offset:2048
	v_mov_b32_e32 v29, 0
	s_waitcnt lgkmcnt(1)
	v_lshl_add_u64 v[26:27], v[26:27], 1, s[74:75]
	v_lshl_add_u64 v[26:27], v[26:27], 0, v[28:29]
	s_waitcnt lgkmcnt(0)
	global_store_short v[26:27], v7, off
	s_or_b64 exec, exec, s[4:5]
	s_and_saveexec_b64 s[4:5], s[36:37]
	s_cbranch_execnz .LBB24_249
.LBB24_179:
	s_or_b64 exec, exec, s[4:5]
	s_and_saveexec_b64 s[4:5], s[38:39]
	s_cbranch_execz .LBB24_250
.LBB24_180:
	v_lshlrev_b32_e32 v7, 3, v44
	ds_read_b64 v[26:27], v7
	v_lshlrev_b32_e32 v28, 1, v2
	ds_read_u16 v7, v28 offset:3072
	v_mov_b32_e32 v29, 0
	s_waitcnt lgkmcnt(1)
	v_lshl_add_u64 v[26:27], v[26:27], 1, s[74:75]
	v_lshl_add_u64 v[26:27], v[26:27], 0, v[28:29]
	s_waitcnt lgkmcnt(0)
	global_store_short v[26:27], v7, off offset:1024
	s_or_b64 exec, exec, s[4:5]
	s_and_saveexec_b64 s[4:5], s[40:41]
	s_cbranch_execnz .LBB24_251
.LBB24_181:
	s_or_b64 exec, exec, s[4:5]
	s_and_saveexec_b64 s[4:5], s[42:43]
	s_cbranch_execz .LBB24_252
.LBB24_182:
	v_lshlrev_b32_e32 v7, 3, v43
	ds_read_b64 v[26:27], v7
	v_lshlrev_b32_e32 v28, 1, v2
	ds_read_u16 v7, v28 offset:4096
	v_mov_b32_e32 v29, 0
	s_waitcnt lgkmcnt(1)
	v_lshl_add_u64 v[26:27], v[26:27], 1, s[74:75]
	v_lshl_add_u64 v[26:27], v[26:27], 0, v[28:29]
	s_waitcnt lgkmcnt(0)
	global_store_short v[26:27], v7, off offset:2048
	s_or_b64 exec, exec, s[4:5]
	s_and_saveexec_b64 s[4:5], s[44:45]
	s_cbranch_execnz .LBB24_253
.LBB24_183:
	s_or_b64 exec, exec, s[4:5]
	s_and_saveexec_b64 s[4:5], s[46:47]
	s_cbranch_execz .LBB24_254
.LBB24_184:
	v_lshlrev_b32_e32 v7, 3, v40
	ds_read_b64 v[24:25], v7
	v_lshlrev_b32_e32 v26, 1, v2
	ds_read_u16 v7, v26 offset:5120
	v_mov_b32_e32 v27, 0
	s_waitcnt lgkmcnt(1)
	v_lshl_add_u64 v[24:25], v[24:25], 1, s[74:75]
	v_lshl_add_u64 v[24:25], v[24:25], 0, v[26:27]
	s_waitcnt lgkmcnt(0)
	global_store_short v[24:25], v7, off offset:3072
	s_or_b64 exec, exec, s[4:5]
	s_and_saveexec_b64 s[4:5], s[48:49]
	s_cbranch_execnz .LBB24_255
.LBB24_185:
	s_or_b64 exec, exec, s[4:5]
	s_and_saveexec_b64 s[4:5], s[50:51]
	s_cbranch_execz .LBB24_256
.LBB24_186:
	v_lshlrev_b32_e32 v7, 3, v37
	ds_read_b64 v[24:25], v7
	v_lshlrev_b32_e32 v7, 1, v2
	ds_read_u16 v7, v7 offset:6144
	v_lshlrev_b32_e32 v26, 1, v11
	v_mov_b32_e32 v27, 0
	s_waitcnt lgkmcnt(1)
	v_lshl_add_u64 v[24:25], v[24:25], 1, s[74:75]
	v_lshl_add_u64 v[24:25], v[24:25], 0, v[26:27]
	s_waitcnt lgkmcnt(0)
	global_store_short v[24:25], v7, off
	s_or_b64 exec, exec, s[4:5]
	s_and_saveexec_b64 s[4:5], s[52:53]
	s_cbranch_execnz .LBB24_257
.LBB24_187:
	s_or_b64 exec, exec, s[4:5]
	s_and_saveexec_b64 s[4:5], s[54:55]
	s_cbranch_execz .LBB24_258
.LBB24_188:
	v_lshlrev_b32_e32 v7, 3, v22
	ds_read_b64 v[22:23], v7
	v_lshlrev_b32_e32 v7, 1, v2
	ds_read_u16 v7, v7 offset:7168
	v_lshlrev_b32_e32 v12, 1, v13
	v_mov_b32_e32 v13, 0
	s_waitcnt lgkmcnt(1)
	v_lshl_add_u64 v[22:23], v[22:23], 1, s[74:75]
	v_lshl_add_u64 v[12:13], v[22:23], 0, v[12:13]
	s_waitcnt lgkmcnt(0)
	global_store_short v[12:13], v7, off
	s_or_b64 exec, exec, s[4:5]
	s_and_saveexec_b64 s[4:5], s[56:57]
	s_cbranch_execnz .LBB24_259
.LBB24_189:
	s_or_b64 exec, exec, s[4:5]
	s_and_saveexec_b64 s[4:5], s[58:59]
	s_cbranch_execz .LBB24_260
.LBB24_190:
	v_lshlrev_b32_e32 v7, 3, v20
	ds_read_b64 v[12:13], v7
	v_lshlrev_b32_e32 v7, 1, v2
	ds_read_u16 v7, v7 offset:8192
	v_lshlrev_b32_e32 v14, 1, v16
	v_mov_b32_e32 v15, 0
	s_waitcnt lgkmcnt(1)
	v_lshl_add_u64 v[12:13], v[12:13], 1, s[74:75]
	v_lshl_add_u64 v[12:13], v[12:13], 0, v[14:15]
	s_waitcnt lgkmcnt(0)
	global_store_short v[12:13], v7, off
	s_or_b64 exec, exec, s[4:5]
	s_and_saveexec_b64 s[4:5], s[60:61]
	s_cbranch_execnz .LBB24_261
.LBB24_191:
	s_or_b64 exec, exec, s[4:5]
	s_and_saveexec_b64 s[4:5], s[62:63]
	s_cbranch_execz .LBB24_262
.LBB24_192:
	v_lshlrev_b32_e32 v7, 3, v9
	ds_read_b64 v[8:9], v7
	v_lshlrev_b32_e32 v7, 1, v2
	ds_read_u16 v7, v7 offset:9216
	v_lshlrev_b32_e32 v12, 1, v18
	v_mov_b32_e32 v13, 0
	s_waitcnt lgkmcnt(1)
	v_lshl_add_u64 v[8:9], v[8:9], 1, s[74:75]
	v_lshl_add_u64 v[8:9], v[8:9], 0, v[12:13]
	s_waitcnt lgkmcnt(0)
	global_store_short v[8:9], v7, off
	s_or_b64 exec, exec, s[4:5]
	s_and_saveexec_b64 s[4:5], s[64:65]
	s_cbranch_execnz .LBB24_263
.LBB24_193:
	s_or_b64 exec, exec, s[4:5]
	s_add_i32 s33, s33, -1
	s_cmp_eq_u32 s2, s33
	s_cbranch_scc0 .LBB24_195
.LBB24_194:
	ds_read_b64 v[2:3], v10
	v_mov_b32_e32 v7, 0
	v_lshl_add_u64 v[4:5], v[6:7], 0, v[4:5]
	s_waitcnt lgkmcnt(0)
	v_lshl_add_u64 v[2:3], v[4:5], 0, v[2:3]
	global_store_dwordx2 v10, v[2:3], s[78:79]
.LBB24_195:
	s_mov_b64 s[4:5], 0
.LBB24_196:
	s_and_b64 vcc, exec, s[4:5]
	s_cbranch_vccz .LBB24_247
; %bb.197:
	s_lshl_b32 s8, s2, 12
	s_mov_b32 s9, 0
	v_and_b32_e32 v2, 0x3ff, v0
	s_lshl_b64 s[4:5], s[8:9], 2
	s_add_u32 s4, s68, s4
	v_mbcnt_hi_u32_b32 v14, -1, v1
	v_lshlrev_b32_e32 v1, 4, v2
	s_addc_u32 s5, s69, s5
	v_and_b32_e32 v3, 0xc00, v1
	v_mov_b32_e32 v5, 0
	v_lshlrev_b32_e32 v4, 2, v14
	v_lshl_add_u64 v[6:7], s[4:5], 0, v[4:5]
	v_lshlrev_b32_e32 v4, 2, v3
	v_lshl_add_u64 v[8:9], v[6:7], 0, v[4:5]
	global_load_dword v1, v[8:9], off
	s_load_dword s4, s[0:1], 0x5c
	s_load_dword s10, s[0:1], 0x50
	s_add_u32 s0, s0, 0x50
	s_addc_u32 s1, s1, 0
	v_mul_u32_u24_e32 v7, 20, v2
	s_waitcnt lgkmcnt(0)
	s_lshr_b32 s4, s4, 16
	s_cmp_lt_u32 s2, s10
	s_cselect_b32 s5, 12, 18
	s_add_u32 s0, s0, s5
	s_addc_u32 s1, s1, 0
	global_load_ushort v11, v5, s[0:1]
	ds_write2_b32 v7, v5, v5 offset0:4 offset1:5
	ds_write2_b32 v7, v5, v5 offset0:6 offset1:7
	ds_write_b32 v7, v5 offset:32
	global_load_dword v10, v[8:9], off offset:256
	global_load_dword v15, v[8:9], off offset:512
	;; [unrolled: 1-line block ×15, first 2 shown]
	v_bfe_u32 v4, v0, 10, 10
	v_bfe_u32 v13, v0, 20, 10
	s_lshl_b32 s0, -1, s81
	v_mad_u32_u24 v9, v13, s4, v4
	v_mov_b32_e32 v0, v5
	s_not_b32 s11, s0
	v_mov_b32_e32 v12, v5
	v_mov_b32_e32 v16, v5
	;; [unrolled: 1-line block ×3, first 2 shown]
	s_waitcnt lgkmcnt(0)
	s_barrier
	s_waitcnt vmcnt(16)
	; wave barrier
	v_xor_b32_e32 v8, 0x80000000, v1
	v_lshrrev_b32_e32 v1, s80, v8
	v_bitop3_b32 v21, v1, s0, v1 bitop3:0x30
	v_and_b32_e32 v4, 1, v21
	v_lshlrev_b32_e32 v1, 30, v21
	v_lshlrev_b32_e32 v13, 29, v21
	v_lshl_add_u64 v[26:27], v[4:5], 0, -1
	v_cmp_ne_u32_e32 vcc, 0, v4
	v_lshlrev_b32_e32 v17, 28, v21
	v_cmp_gt_i64_e64 s[4:5], 0, v[12:13]
	s_waitcnt vmcnt(15)
	v_mad_u64_u32 v[18:19], s[0:1], v9, v11, v[2:3]
	v_cmp_gt_i64_e64 s[0:1], 0, v[0:1]
	v_not_b32_e32 v0, v1
	v_not_b32_e32 v1, v13
	v_xor_b32_e32 v12, vcc_lo, v26
	v_ashrrev_i32_e32 v0, 31, v0
	v_not_b32_e32 v4, v17
	v_ashrrev_i32_e32 v1, 31, v1
	v_and_b32_e32 v12, exec_lo, v12
	v_xor_b32_e32 v13, s1, v0
	v_xor_b32_e32 v0, s0, v0
	v_cmp_gt_i64_e64 s[6:7], 0, v[16:17]
	v_xor_b32_e32 v11, vcc_hi, v27
	v_ashrrev_i32_e32 v4, 31, v4
	v_xor_b32_e32 v16, s5, v1
	v_xor_b32_e32 v1, s4, v1
	v_and_b32_e32 v0, v12, v0
	v_lshlrev_b32_e32 v23, 27, v21
	v_and_b32_e32 v11, exec_hi, v11
	v_xor_b32_e32 v17, s7, v4
	v_xor_b32_e32 v4, s6, v4
	v_and_b32_e32 v0, v0, v1
	v_and_b32_e32 v11, v11, v13
	;; [unrolled: 1-line block ×3, first 2 shown]
	v_not_b32_e32 v4, v23
	v_and_b32_e32 v11, v11, v16
	v_cmp_gt_i64_e32 vcc, 0, v[22:23]
	v_ashrrev_i32_e32 v4, 31, v4
	v_and_b32_e32 v1, v11, v17
	v_xor_b32_e32 v11, vcc_hi, v4
	v_xor_b32_e32 v4, vcc_lo, v4
	v_and_b32_e32 v11, v1, v11
	v_and_b32_e32 v4, v0, v4
	v_lshlrev_b32_e32 v1, 26, v21
	v_mov_b32_e32 v0, v5
	v_cmp_gt_i64_e32 vcc, 0, v[0:1]
	v_not_b32_e32 v0, v1
	v_ashrrev_i32_e32 v0, 31, v0
	v_xor_b32_e32 v1, vcc_hi, v0
	v_xor_b32_e32 v0, vcc_lo, v0
	v_and_b32_e32 v11, v11, v1
	v_and_b32_e32 v4, v4, v0
	v_lshlrev_b32_e32 v1, 25, v21
	v_mov_b32_e32 v0, v5
	v_cmp_gt_i64_e32 vcc, 0, v[0:1]
	v_not_b32_e32 v0, v1
	v_ashrrev_i32_e32 v0, 31, v0
	;; [unrolled: 9-line block ×3, first 2 shown]
	v_xor_b32_e32 v1, vcc_hi, v0
	v_xor_b32_e32 v0, vcc_lo, v0
	v_and_b32_e32 v0, v4, v0
	v_and_b32_e32 v1, v11, v1
	v_mbcnt_lo_u32_b32 v4, v0, 0
	v_mbcnt_hi_u32_b32 v11, v1, v4
	v_mul_lo_u32 v28, v21, 20
	v_lshrrev_b32_e32 v19, 6, v18
	v_cmp_eq_u32_e32 vcc, 0, v11
	v_cmp_ne_u64_e64 s[0:1], 0, v[0:1]
	v_lshl_add_u32 v9, v19, 2, v28
	s_and_b64 s[4:5], s[0:1], vcc
	s_and_saveexec_b64 s[0:1], s[4:5]
; %bb.198:
	v_bcnt_u32_b32 v0, v0, 0
	v_bcnt_u32_b32 v0, v1, v0
	ds_write_b32 v9, v0 offset:16
; %bb.199:
	s_or_b64 exec, exec, s[0:1]
	s_waitcnt vmcnt(14)
	v_xor_b32_e32 v10, 0x80000000, v10
	v_lshrrev_b32_e32 v0, s80, v10
	v_and_b32_e32 v16, s11, v0
	v_mul_lo_u32 v0, v16, 20
	v_and_b32_e32 v4, 1, v16
	v_lshl_add_u32 v13, v19, 2, v0
	v_lshl_add_u64 v[0:1], v[4:5], 0, -1
	v_cmp_ne_u32_e32 vcc, 0, v4
	; wave barrier
	s_nop 1
	v_xor_b32_e32 v1, vcc_hi, v1
	v_xor_b32_e32 v0, vcc_lo, v0
	v_and_b32_e32 v4, exec_hi, v1
	v_and_b32_e32 v17, exec_lo, v0
	v_lshlrev_b32_e32 v1, 30, v16
	v_mov_b32_e32 v0, v5
	v_cmp_gt_i64_e32 vcc, 0, v[0:1]
	v_not_b32_e32 v0, v1
	v_ashrrev_i32_e32 v0, 31, v0
	v_xor_b32_e32 v1, vcc_hi, v0
	v_xor_b32_e32 v0, vcc_lo, v0
	v_and_b32_e32 v4, v4, v1
	v_and_b32_e32 v17, v17, v0
	v_lshlrev_b32_e32 v1, 29, v16
	v_mov_b32_e32 v0, v5
	v_cmp_gt_i64_e32 vcc, 0, v[0:1]
	v_not_b32_e32 v0, v1
	v_ashrrev_i32_e32 v0, 31, v0
	v_xor_b32_e32 v1, vcc_hi, v0
	v_xor_b32_e32 v0, vcc_lo, v0
	v_and_b32_e32 v4, v4, v1
	v_and_b32_e32 v17, v17, v0
	;; [unrolled: 9-line block ×6, first 2 shown]
	v_lshlrev_b32_e32 v1, 24, v16
	v_mov_b32_e32 v0, v5
	v_cmp_gt_i64_e32 vcc, 0, v[0:1]
	v_not_b32_e32 v0, v1
	v_ashrrev_i32_e32 v0, 31, v0
	v_xor_b32_e32 v1, vcc_hi, v0
	v_xor_b32_e32 v0, vcc_lo, v0
	ds_read_b32 v12, v13 offset:16
	v_and_b32_e32 v0, v17, v0
	v_and_b32_e32 v1, v4, v1
	v_mbcnt_lo_u32_b32 v4, v0, 0
	v_mbcnt_hi_u32_b32 v16, v1, v4
	v_cmp_eq_u32_e32 vcc, 0, v16
	v_cmp_ne_u64_e64 s[0:1], 0, v[0:1]
	s_and_b64 s[4:5], s[0:1], vcc
	; wave barrier
	s_and_saveexec_b64 s[0:1], s[4:5]
	s_cbranch_execz .LBB24_201
; %bb.200:
	v_bcnt_u32_b32 v0, v0, 0
	v_bcnt_u32_b32 v0, v1, v0
	s_waitcnt lgkmcnt(0)
	v_add_u32_e32 v0, v12, v0
	ds_write_b32 v13, v0 offset:16
.LBB24_201:
	s_or_b64 exec, exec, s[0:1]
	s_waitcnt vmcnt(13)
	v_xor_b32_e32 v15, 0x80000000, v15
	v_lshrrev_b32_e32 v0, s80, v15
	v_and_b32_e32 v21, s11, v0
	v_mul_lo_u32 v0, v21, 20
	v_lshl_add_u32 v18, v19, 2, v0
	v_and_b32_e32 v0, 1, v21
	v_mov_b32_e32 v1, 0
	v_lshl_add_u64 v[4:5], v[0:1], 0, -1
	v_cmp_ne_u32_e32 vcc, 0, v0
	; wave barrier
	s_nop 1
	v_xor_b32_e32 v4, vcc_lo, v4
	v_xor_b32_e32 v0, vcc_hi, v5
	v_and_b32_e32 v22, exec_lo, v4
	v_lshlrev_b32_e32 v5, 30, v21
	v_mov_b32_e32 v4, v1
	v_cmp_gt_i64_e32 vcc, 0, v[4:5]
	v_not_b32_e32 v4, v5
	v_ashrrev_i32_e32 v4, 31, v4
	v_and_b32_e32 v0, exec_hi, v0
	v_xor_b32_e32 v5, vcc_hi, v4
	v_xor_b32_e32 v4, vcc_lo, v4
	v_and_b32_e32 v0, v0, v5
	v_and_b32_e32 v22, v22, v4
	v_lshlrev_b32_e32 v5, 29, v21
	v_mov_b32_e32 v4, v1
	v_cmp_gt_i64_e32 vcc, 0, v[4:5]
	v_not_b32_e32 v4, v5
	v_ashrrev_i32_e32 v4, 31, v4
	v_xor_b32_e32 v5, vcc_hi, v4
	v_xor_b32_e32 v4, vcc_lo, v4
	v_and_b32_e32 v0, v0, v5
	v_and_b32_e32 v22, v22, v4
	v_lshlrev_b32_e32 v5, 28, v21
	v_mov_b32_e32 v4, v1
	v_cmp_gt_i64_e32 vcc, 0, v[4:5]
	v_not_b32_e32 v4, v5
	v_ashrrev_i32_e32 v4, 31, v4
	;; [unrolled: 9-line block ×6, first 2 shown]
	v_xor_b32_e32 v5, vcc_hi, v4
	v_xor_b32_e32 v4, vcc_lo, v4
	ds_read_b32 v17, v18 offset:16
	v_and_b32_e32 v4, v22, v4
	v_and_b32_e32 v5, v0, v5
	v_mbcnt_lo_u32_b32 v0, v4, 0
	v_mbcnt_hi_u32_b32 v21, v5, v0
	v_cmp_eq_u32_e32 vcc, 0, v21
	v_cmp_ne_u64_e64 s[0:1], 0, v[4:5]
	s_and_b64 s[4:5], s[0:1], vcc
	; wave barrier
	s_and_saveexec_b64 s[0:1], s[4:5]
	s_cbranch_execz .LBB24_203
; %bb.202:
	v_bcnt_u32_b32 v0, v4, 0
	v_bcnt_u32_b32 v0, v5, v0
	s_waitcnt lgkmcnt(0)
	v_add_u32_e32 v0, v17, v0
	ds_write_b32 v18, v0 offset:16
.LBB24_203:
	s_or_b64 exec, exec, s[0:1]
	s_waitcnt vmcnt(12)
	v_xor_b32_e32 v20, 0x80000000, v20
	v_lshrrev_b32_e32 v0, s80, v20
	v_and_b32_e32 v26, s11, v0
	v_mul_lo_u32 v0, v26, 20
	v_lshl_add_u32 v23, v19, 2, v0
	v_and_b32_e32 v0, 1, v26
	v_lshl_add_u64 v[4:5], v[0:1], 0, -1
	v_cmp_ne_u32_e32 vcc, 0, v0
	; wave barrier
	s_nop 1
	v_xor_b32_e32 v4, vcc_lo, v4
	v_xor_b32_e32 v0, vcc_hi, v5
	v_and_b32_e32 v27, exec_lo, v4
	v_lshlrev_b32_e32 v5, 30, v26
	v_mov_b32_e32 v4, v1
	v_cmp_gt_i64_e32 vcc, 0, v[4:5]
	v_not_b32_e32 v4, v5
	v_ashrrev_i32_e32 v4, 31, v4
	v_and_b32_e32 v0, exec_hi, v0
	v_xor_b32_e32 v5, vcc_hi, v4
	v_xor_b32_e32 v4, vcc_lo, v4
	v_and_b32_e32 v0, v0, v5
	v_and_b32_e32 v27, v27, v4
	v_lshlrev_b32_e32 v5, 29, v26
	v_mov_b32_e32 v4, v1
	v_cmp_gt_i64_e32 vcc, 0, v[4:5]
	v_not_b32_e32 v4, v5
	v_ashrrev_i32_e32 v4, 31, v4
	v_xor_b32_e32 v5, vcc_hi, v4
	v_xor_b32_e32 v4, vcc_lo, v4
	v_and_b32_e32 v0, v0, v5
	v_and_b32_e32 v27, v27, v4
	v_lshlrev_b32_e32 v5, 28, v26
	v_mov_b32_e32 v4, v1
	v_cmp_gt_i64_e32 vcc, 0, v[4:5]
	v_not_b32_e32 v4, v5
	v_ashrrev_i32_e32 v4, 31, v4
	;; [unrolled: 9-line block ×5, first 2 shown]
	v_xor_b32_e32 v5, vcc_hi, v4
	v_xor_b32_e32 v4, vcc_lo, v4
	v_and_b32_e32 v0, v0, v5
	v_lshlrev_b32_e32 v5, 24, v26
	v_and_b32_e32 v27, v27, v4
	v_mov_b32_e32 v4, v1
	v_not_b32_e32 v1, v5
	v_cmp_gt_i64_e32 vcc, 0, v[4:5]
	v_ashrrev_i32_e32 v1, 31, v1
	ds_read_b32 v22, v23 offset:16
	v_xor_b32_e32 v4, vcc_hi, v1
	v_xor_b32_e32 v5, vcc_lo, v1
	v_and_b32_e32 v1, v0, v4
	v_and_b32_e32 v0, v27, v5
	v_mbcnt_lo_u32_b32 v4, v0, 0
	v_mbcnt_hi_u32_b32 v26, v1, v4
	v_cmp_eq_u32_e32 vcc, 0, v26
	v_cmp_ne_u64_e64 s[0:1], 0, v[0:1]
	s_and_b64 s[4:5], s[0:1], vcc
	; wave barrier
	s_and_saveexec_b64 s[0:1], s[4:5]
	s_cbranch_execz .LBB24_205
; %bb.204:
	v_bcnt_u32_b32 v0, v0, 0
	v_bcnt_u32_b32 v0, v1, v0
	s_waitcnt lgkmcnt(0)
	v_add_u32_e32 v0, v22, v0
	ds_write_b32 v23, v0 offset:16
.LBB24_205:
	s_or_b64 exec, exec, s[0:1]
	s_waitcnt vmcnt(11)
	v_xor_b32_e32 v25, 0x80000000, v25
	v_lshrrev_b32_e32 v0, s80, v25
	v_and_b32_e32 v31, s11, v0
	v_mul_lo_u32 v0, v31, 20
	v_lshl_add_u32 v28, v19, 2, v0
	v_and_b32_e32 v0, 1, v31
	v_mov_b32_e32 v1, 0
	v_lshl_add_u64 v[4:5], v[0:1], 0, -1
	v_cmp_ne_u32_e32 vcc, 0, v0
	; wave barrier
	s_nop 1
	v_xor_b32_e32 v4, vcc_lo, v4
	v_xor_b32_e32 v0, vcc_hi, v5
	v_and_b32_e32 v32, exec_lo, v4
	v_lshlrev_b32_e32 v5, 30, v31
	v_mov_b32_e32 v4, v1
	v_cmp_gt_i64_e32 vcc, 0, v[4:5]
	v_not_b32_e32 v4, v5
	v_ashrrev_i32_e32 v4, 31, v4
	v_and_b32_e32 v0, exec_hi, v0
	v_xor_b32_e32 v5, vcc_hi, v4
	v_xor_b32_e32 v4, vcc_lo, v4
	v_and_b32_e32 v0, v0, v5
	v_and_b32_e32 v32, v32, v4
	v_lshlrev_b32_e32 v5, 29, v31
	v_mov_b32_e32 v4, v1
	v_cmp_gt_i64_e32 vcc, 0, v[4:5]
	v_not_b32_e32 v4, v5
	v_ashrrev_i32_e32 v4, 31, v4
	v_xor_b32_e32 v5, vcc_hi, v4
	v_xor_b32_e32 v4, vcc_lo, v4
	v_and_b32_e32 v0, v0, v5
	v_and_b32_e32 v32, v32, v4
	v_lshlrev_b32_e32 v5, 28, v31
	v_mov_b32_e32 v4, v1
	v_cmp_gt_i64_e32 vcc, 0, v[4:5]
	v_not_b32_e32 v4, v5
	v_ashrrev_i32_e32 v4, 31, v4
	;; [unrolled: 9-line block ×6, first 2 shown]
	v_xor_b32_e32 v5, vcc_hi, v4
	v_xor_b32_e32 v4, vcc_lo, v4
	ds_read_b32 v27, v28 offset:16
	v_and_b32_e32 v4, v32, v4
	v_and_b32_e32 v5, v0, v5
	v_mbcnt_lo_u32_b32 v0, v4, 0
	v_mbcnt_hi_u32_b32 v31, v5, v0
	v_cmp_eq_u32_e32 vcc, 0, v31
	v_cmp_ne_u64_e64 s[0:1], 0, v[4:5]
	s_and_b64 s[4:5], s[0:1], vcc
	; wave barrier
	s_and_saveexec_b64 s[0:1], s[4:5]
	s_cbranch_execz .LBB24_207
; %bb.206:
	v_bcnt_u32_b32 v0, v4, 0
	v_bcnt_u32_b32 v0, v5, v0
	s_waitcnt lgkmcnt(0)
	v_add_u32_e32 v0, v27, v0
	ds_write_b32 v28, v0 offset:16
.LBB24_207:
	s_or_b64 exec, exec, s[0:1]
	s_waitcnt vmcnt(10)
	v_xor_b32_e32 v30, 0x80000000, v30
	v_lshrrev_b32_e32 v0, s80, v30
	v_and_b32_e32 v36, s11, v0
	v_mul_lo_u32 v0, v36, 20
	v_lshl_add_u32 v33, v19, 2, v0
	v_and_b32_e32 v0, 1, v36
	v_lshl_add_u64 v[4:5], v[0:1], 0, -1
	v_cmp_ne_u32_e32 vcc, 0, v0
	; wave barrier
	s_nop 1
	v_xor_b32_e32 v4, vcc_lo, v4
	v_xor_b32_e32 v0, vcc_hi, v5
	v_and_b32_e32 v37, exec_lo, v4
	v_lshlrev_b32_e32 v5, 30, v36
	v_mov_b32_e32 v4, v1
	v_cmp_gt_i64_e32 vcc, 0, v[4:5]
	v_not_b32_e32 v4, v5
	v_ashrrev_i32_e32 v4, 31, v4
	v_and_b32_e32 v0, exec_hi, v0
	v_xor_b32_e32 v5, vcc_hi, v4
	v_xor_b32_e32 v4, vcc_lo, v4
	v_and_b32_e32 v0, v0, v5
	v_and_b32_e32 v37, v37, v4
	v_lshlrev_b32_e32 v5, 29, v36
	v_mov_b32_e32 v4, v1
	v_cmp_gt_i64_e32 vcc, 0, v[4:5]
	v_not_b32_e32 v4, v5
	v_ashrrev_i32_e32 v4, 31, v4
	v_xor_b32_e32 v5, vcc_hi, v4
	v_xor_b32_e32 v4, vcc_lo, v4
	v_and_b32_e32 v0, v0, v5
	v_and_b32_e32 v37, v37, v4
	v_lshlrev_b32_e32 v5, 28, v36
	v_mov_b32_e32 v4, v1
	v_cmp_gt_i64_e32 vcc, 0, v[4:5]
	v_not_b32_e32 v4, v5
	v_ashrrev_i32_e32 v4, 31, v4
	;; [unrolled: 9-line block ×5, first 2 shown]
	v_xor_b32_e32 v5, vcc_hi, v4
	v_xor_b32_e32 v4, vcc_lo, v4
	v_and_b32_e32 v0, v0, v5
	v_lshlrev_b32_e32 v5, 24, v36
	v_and_b32_e32 v37, v37, v4
	v_mov_b32_e32 v4, v1
	v_not_b32_e32 v1, v5
	v_cmp_gt_i64_e32 vcc, 0, v[4:5]
	v_ashrrev_i32_e32 v1, 31, v1
	ds_read_b32 v32, v33 offset:16
	v_xor_b32_e32 v4, vcc_hi, v1
	v_xor_b32_e32 v5, vcc_lo, v1
	v_and_b32_e32 v1, v0, v4
	v_and_b32_e32 v0, v37, v5
	v_mbcnt_lo_u32_b32 v4, v0, 0
	v_mbcnt_hi_u32_b32 v36, v1, v4
	v_cmp_eq_u32_e32 vcc, 0, v36
	v_cmp_ne_u64_e64 s[0:1], 0, v[0:1]
	s_and_b64 s[4:5], s[0:1], vcc
	; wave barrier
	s_and_saveexec_b64 s[0:1], s[4:5]
	s_cbranch_execz .LBB24_209
; %bb.208:
	v_bcnt_u32_b32 v0, v0, 0
	v_bcnt_u32_b32 v0, v1, v0
	s_waitcnt lgkmcnt(0)
	v_add_u32_e32 v0, v32, v0
	ds_write_b32 v33, v0 offset:16
.LBB24_209:
	s_or_b64 exec, exec, s[0:1]
	s_waitcnt vmcnt(9)
	v_xor_b32_e32 v35, 0x80000000, v35
	v_lshrrev_b32_e32 v0, s80, v35
	v_and_b32_e32 v41, s11, v0
	v_mul_lo_u32 v0, v41, 20
	v_lshl_add_u32 v38, v19, 2, v0
	v_and_b32_e32 v0, 1, v41
	v_mov_b32_e32 v1, 0
	v_lshl_add_u64 v[4:5], v[0:1], 0, -1
	v_cmp_ne_u32_e32 vcc, 0, v0
	; wave barrier
	s_nop 1
	v_xor_b32_e32 v4, vcc_lo, v4
	v_xor_b32_e32 v0, vcc_hi, v5
	v_and_b32_e32 v42, exec_lo, v4
	v_lshlrev_b32_e32 v5, 30, v41
	v_mov_b32_e32 v4, v1
	v_cmp_gt_i64_e32 vcc, 0, v[4:5]
	v_not_b32_e32 v4, v5
	v_ashrrev_i32_e32 v4, 31, v4
	v_and_b32_e32 v0, exec_hi, v0
	v_xor_b32_e32 v5, vcc_hi, v4
	v_xor_b32_e32 v4, vcc_lo, v4
	v_and_b32_e32 v0, v0, v5
	v_and_b32_e32 v42, v42, v4
	v_lshlrev_b32_e32 v5, 29, v41
	v_mov_b32_e32 v4, v1
	v_cmp_gt_i64_e32 vcc, 0, v[4:5]
	v_not_b32_e32 v4, v5
	v_ashrrev_i32_e32 v4, 31, v4
	v_xor_b32_e32 v5, vcc_hi, v4
	v_xor_b32_e32 v4, vcc_lo, v4
	v_and_b32_e32 v0, v0, v5
	v_and_b32_e32 v42, v42, v4
	v_lshlrev_b32_e32 v5, 28, v41
	v_mov_b32_e32 v4, v1
	v_cmp_gt_i64_e32 vcc, 0, v[4:5]
	v_not_b32_e32 v4, v5
	v_ashrrev_i32_e32 v4, 31, v4
	;; [unrolled: 9-line block ×6, first 2 shown]
	v_xor_b32_e32 v5, vcc_hi, v4
	v_xor_b32_e32 v4, vcc_lo, v4
	ds_read_b32 v37, v38 offset:16
	v_and_b32_e32 v4, v42, v4
	v_and_b32_e32 v5, v0, v5
	v_mbcnt_lo_u32_b32 v0, v4, 0
	v_mbcnt_hi_u32_b32 v41, v5, v0
	v_cmp_eq_u32_e32 vcc, 0, v41
	v_cmp_ne_u64_e64 s[0:1], 0, v[4:5]
	s_and_b64 s[4:5], s[0:1], vcc
	; wave barrier
	s_and_saveexec_b64 s[0:1], s[4:5]
	s_cbranch_execz .LBB24_211
; %bb.210:
	v_bcnt_u32_b32 v0, v4, 0
	v_bcnt_u32_b32 v0, v5, v0
	s_waitcnt lgkmcnt(0)
	v_add_u32_e32 v0, v37, v0
	ds_write_b32 v38, v0 offset:16
.LBB24_211:
	s_or_b64 exec, exec, s[0:1]
	s_waitcnt vmcnt(8)
	v_xor_b32_e32 v40, 0x80000000, v40
	v_lshrrev_b32_e32 v0, s80, v40
	v_and_b32_e32 v46, s11, v0
	v_mul_lo_u32 v0, v46, 20
	v_lshl_add_u32 v43, v19, 2, v0
	v_and_b32_e32 v0, 1, v46
	v_lshl_add_u64 v[4:5], v[0:1], 0, -1
	v_cmp_ne_u32_e32 vcc, 0, v0
	; wave barrier
	s_nop 1
	v_xor_b32_e32 v4, vcc_lo, v4
	v_xor_b32_e32 v0, vcc_hi, v5
	v_and_b32_e32 v47, exec_lo, v4
	v_lshlrev_b32_e32 v5, 30, v46
	v_mov_b32_e32 v4, v1
	v_cmp_gt_i64_e32 vcc, 0, v[4:5]
	v_not_b32_e32 v4, v5
	v_ashrrev_i32_e32 v4, 31, v4
	v_and_b32_e32 v0, exec_hi, v0
	v_xor_b32_e32 v5, vcc_hi, v4
	v_xor_b32_e32 v4, vcc_lo, v4
	v_and_b32_e32 v0, v0, v5
	v_and_b32_e32 v47, v47, v4
	v_lshlrev_b32_e32 v5, 29, v46
	v_mov_b32_e32 v4, v1
	v_cmp_gt_i64_e32 vcc, 0, v[4:5]
	v_not_b32_e32 v4, v5
	v_ashrrev_i32_e32 v4, 31, v4
	v_xor_b32_e32 v5, vcc_hi, v4
	v_xor_b32_e32 v4, vcc_lo, v4
	v_and_b32_e32 v0, v0, v5
	v_and_b32_e32 v47, v47, v4
	v_lshlrev_b32_e32 v5, 28, v46
	v_mov_b32_e32 v4, v1
	v_cmp_gt_i64_e32 vcc, 0, v[4:5]
	v_not_b32_e32 v4, v5
	v_ashrrev_i32_e32 v4, 31, v4
	;; [unrolled: 9-line block ×5, first 2 shown]
	v_xor_b32_e32 v5, vcc_hi, v4
	v_xor_b32_e32 v4, vcc_lo, v4
	v_and_b32_e32 v0, v0, v5
	v_lshlrev_b32_e32 v5, 24, v46
	v_and_b32_e32 v47, v47, v4
	v_mov_b32_e32 v4, v1
	v_not_b32_e32 v1, v5
	v_cmp_gt_i64_e32 vcc, 0, v[4:5]
	v_ashrrev_i32_e32 v1, 31, v1
	ds_read_b32 v42, v43 offset:16
	v_xor_b32_e32 v4, vcc_hi, v1
	v_xor_b32_e32 v5, vcc_lo, v1
	v_and_b32_e32 v1, v0, v4
	v_and_b32_e32 v0, v47, v5
	v_mbcnt_lo_u32_b32 v4, v0, 0
	v_mbcnt_hi_u32_b32 v46, v1, v4
	v_cmp_eq_u32_e32 vcc, 0, v46
	v_cmp_ne_u64_e64 s[0:1], 0, v[0:1]
	s_and_b64 s[4:5], s[0:1], vcc
	; wave barrier
	s_and_saveexec_b64 s[0:1], s[4:5]
	s_cbranch_execz .LBB24_213
; %bb.212:
	v_bcnt_u32_b32 v0, v0, 0
	v_bcnt_u32_b32 v0, v1, v0
	s_waitcnt lgkmcnt(0)
	v_add_u32_e32 v0, v42, v0
	ds_write_b32 v43, v0 offset:16
.LBB24_213:
	s_or_b64 exec, exec, s[0:1]
	s_waitcnt vmcnt(7)
	v_xor_b32_e32 v45, 0x80000000, v45
	v_lshrrev_b32_e32 v0, s80, v45
	v_and_b32_e32 v50, s11, v0
	v_mul_lo_u32 v0, v50, 20
	v_lshl_add_u32 v48, v19, 2, v0
	v_and_b32_e32 v0, 1, v50
	v_mov_b32_e32 v1, 0
	v_lshl_add_u64 v[4:5], v[0:1], 0, -1
	v_cmp_ne_u32_e32 vcc, 0, v0
	; wave barrier
	s_nop 1
	v_xor_b32_e32 v4, vcc_lo, v4
	v_xor_b32_e32 v0, vcc_hi, v5
	v_and_b32_e32 v51, exec_lo, v4
	v_lshlrev_b32_e32 v5, 30, v50
	v_mov_b32_e32 v4, v1
	v_cmp_gt_i64_e32 vcc, 0, v[4:5]
	v_not_b32_e32 v4, v5
	v_ashrrev_i32_e32 v4, 31, v4
	v_and_b32_e32 v0, exec_hi, v0
	v_xor_b32_e32 v5, vcc_hi, v4
	v_xor_b32_e32 v4, vcc_lo, v4
	v_and_b32_e32 v0, v0, v5
	v_and_b32_e32 v51, v51, v4
	v_lshlrev_b32_e32 v5, 29, v50
	v_mov_b32_e32 v4, v1
	v_cmp_gt_i64_e32 vcc, 0, v[4:5]
	v_not_b32_e32 v4, v5
	v_ashrrev_i32_e32 v4, 31, v4
	v_xor_b32_e32 v5, vcc_hi, v4
	v_xor_b32_e32 v4, vcc_lo, v4
	v_and_b32_e32 v0, v0, v5
	v_and_b32_e32 v51, v51, v4
	v_lshlrev_b32_e32 v5, 28, v50
	v_mov_b32_e32 v4, v1
	v_cmp_gt_i64_e32 vcc, 0, v[4:5]
	v_not_b32_e32 v4, v5
	v_ashrrev_i32_e32 v4, 31, v4
	;; [unrolled: 9-line block ×6, first 2 shown]
	v_xor_b32_e32 v5, vcc_hi, v4
	v_xor_b32_e32 v4, vcc_lo, v4
	ds_read_b32 v47, v48 offset:16
	v_and_b32_e32 v4, v51, v4
	v_and_b32_e32 v5, v0, v5
	v_mbcnt_lo_u32_b32 v0, v4, 0
	v_mbcnt_hi_u32_b32 v50, v5, v0
	v_cmp_eq_u32_e32 vcc, 0, v50
	v_cmp_ne_u64_e64 s[0:1], 0, v[4:5]
	s_and_b64 s[4:5], s[0:1], vcc
	; wave barrier
	s_and_saveexec_b64 s[0:1], s[4:5]
	s_cbranch_execz .LBB24_215
; %bb.214:
	v_bcnt_u32_b32 v0, v4, 0
	v_bcnt_u32_b32 v0, v5, v0
	s_waitcnt lgkmcnt(0)
	v_add_u32_e32 v0, v47, v0
	ds_write_b32 v48, v0 offset:16
.LBB24_215:
	s_or_b64 exec, exec, s[0:1]
	s_waitcnt vmcnt(6)
	v_xor_b32_e32 v49, 0x80000000, v49
	v_lshrrev_b32_e32 v0, s80, v49
	v_and_b32_e32 v53, s11, v0
	v_mul_lo_u32 v0, v53, 20
	v_lshl_add_u32 v52, v19, 2, v0
	v_and_b32_e32 v0, 1, v53
	v_lshl_add_u64 v[4:5], v[0:1], 0, -1
	v_cmp_ne_u32_e32 vcc, 0, v0
	; wave barrier
	s_nop 1
	v_xor_b32_e32 v4, vcc_lo, v4
	v_xor_b32_e32 v0, vcc_hi, v5
	v_and_b32_e32 v54, exec_lo, v4
	v_lshlrev_b32_e32 v5, 30, v53
	v_mov_b32_e32 v4, v1
	v_cmp_gt_i64_e32 vcc, 0, v[4:5]
	v_not_b32_e32 v4, v5
	v_ashrrev_i32_e32 v4, 31, v4
	v_and_b32_e32 v0, exec_hi, v0
	v_xor_b32_e32 v5, vcc_hi, v4
	v_xor_b32_e32 v4, vcc_lo, v4
	v_and_b32_e32 v0, v0, v5
	v_and_b32_e32 v54, v54, v4
	v_lshlrev_b32_e32 v5, 29, v53
	v_mov_b32_e32 v4, v1
	v_cmp_gt_i64_e32 vcc, 0, v[4:5]
	v_not_b32_e32 v4, v5
	v_ashrrev_i32_e32 v4, 31, v4
	v_xor_b32_e32 v5, vcc_hi, v4
	v_xor_b32_e32 v4, vcc_lo, v4
	v_and_b32_e32 v0, v0, v5
	v_and_b32_e32 v54, v54, v4
	v_lshlrev_b32_e32 v5, 28, v53
	v_mov_b32_e32 v4, v1
	v_cmp_gt_i64_e32 vcc, 0, v[4:5]
	v_not_b32_e32 v4, v5
	v_ashrrev_i32_e32 v4, 31, v4
	;; [unrolled: 9-line block ×5, first 2 shown]
	v_xor_b32_e32 v5, vcc_hi, v4
	v_xor_b32_e32 v4, vcc_lo, v4
	v_and_b32_e32 v0, v0, v5
	v_lshlrev_b32_e32 v5, 24, v53
	v_and_b32_e32 v54, v54, v4
	v_mov_b32_e32 v4, v1
	v_not_b32_e32 v1, v5
	v_cmp_gt_i64_e32 vcc, 0, v[4:5]
	v_ashrrev_i32_e32 v1, 31, v1
	ds_read_b32 v51, v52 offset:16
	v_xor_b32_e32 v4, vcc_hi, v1
	v_xor_b32_e32 v5, vcc_lo, v1
	v_and_b32_e32 v1, v0, v4
	v_and_b32_e32 v0, v54, v5
	v_mbcnt_lo_u32_b32 v4, v0, 0
	v_mbcnt_hi_u32_b32 v53, v1, v4
	v_cmp_eq_u32_e32 vcc, 0, v53
	v_cmp_ne_u64_e64 s[0:1], 0, v[0:1]
	s_and_b64 s[4:5], s[0:1], vcc
	; wave barrier
	s_and_saveexec_b64 s[0:1], s[4:5]
	s_cbranch_execz .LBB24_217
; %bb.216:
	v_bcnt_u32_b32 v0, v0, 0
	v_bcnt_u32_b32 v0, v1, v0
	s_waitcnt lgkmcnt(0)
	v_add_u32_e32 v0, v51, v0
	ds_write_b32 v52, v0 offset:16
.LBB24_217:
	s_or_b64 exec, exec, s[0:1]
	s_waitcnt vmcnt(5)
	v_xor_b32_e32 v44, 0x80000000, v44
	v_lshrrev_b32_e32 v0, s80, v44
	v_and_b32_e32 v56, s11, v0
	v_mul_lo_u32 v0, v56, 20
	v_lshl_add_u32 v55, v19, 2, v0
	v_and_b32_e32 v0, 1, v56
	v_mov_b32_e32 v1, 0
	v_lshl_add_u64 v[4:5], v[0:1], 0, -1
	v_cmp_ne_u32_e32 vcc, 0, v0
	; wave barrier
	s_nop 1
	v_xor_b32_e32 v4, vcc_lo, v4
	v_xor_b32_e32 v0, vcc_hi, v5
	v_and_b32_e32 v57, exec_lo, v4
	v_lshlrev_b32_e32 v5, 30, v56
	v_mov_b32_e32 v4, v1
	v_cmp_gt_i64_e32 vcc, 0, v[4:5]
	v_not_b32_e32 v4, v5
	v_ashrrev_i32_e32 v4, 31, v4
	v_and_b32_e32 v0, exec_hi, v0
	v_xor_b32_e32 v5, vcc_hi, v4
	v_xor_b32_e32 v4, vcc_lo, v4
	v_and_b32_e32 v0, v0, v5
	v_and_b32_e32 v57, v57, v4
	v_lshlrev_b32_e32 v5, 29, v56
	v_mov_b32_e32 v4, v1
	v_cmp_gt_i64_e32 vcc, 0, v[4:5]
	v_not_b32_e32 v4, v5
	v_ashrrev_i32_e32 v4, 31, v4
	v_xor_b32_e32 v5, vcc_hi, v4
	v_xor_b32_e32 v4, vcc_lo, v4
	v_and_b32_e32 v0, v0, v5
	v_and_b32_e32 v57, v57, v4
	v_lshlrev_b32_e32 v5, 28, v56
	v_mov_b32_e32 v4, v1
	v_cmp_gt_i64_e32 vcc, 0, v[4:5]
	v_not_b32_e32 v4, v5
	v_ashrrev_i32_e32 v4, 31, v4
	;; [unrolled: 9-line block ×6, first 2 shown]
	v_xor_b32_e32 v5, vcc_hi, v4
	v_xor_b32_e32 v4, vcc_lo, v4
	ds_read_b32 v54, v55 offset:16
	v_and_b32_e32 v4, v57, v4
	v_and_b32_e32 v5, v0, v5
	v_mbcnt_lo_u32_b32 v0, v4, 0
	v_mbcnt_hi_u32_b32 v56, v5, v0
	v_cmp_eq_u32_e32 vcc, 0, v56
	v_cmp_ne_u64_e64 s[0:1], 0, v[4:5]
	s_and_b64 s[4:5], s[0:1], vcc
	; wave barrier
	s_and_saveexec_b64 s[0:1], s[4:5]
	s_cbranch_execz .LBB24_219
; %bb.218:
	v_bcnt_u32_b32 v0, v4, 0
	v_bcnt_u32_b32 v0, v5, v0
	s_waitcnt lgkmcnt(0)
	v_add_u32_e32 v0, v54, v0
	ds_write_b32 v55, v0 offset:16
.LBB24_219:
	s_or_b64 exec, exec, s[0:1]
	s_waitcnt vmcnt(4)
	v_xor_b32_e32 v39, 0x80000000, v39
	v_lshrrev_b32_e32 v0, s80, v39
	v_and_b32_e32 v59, s11, v0
	v_mul_lo_u32 v0, v59, 20
	v_lshl_add_u32 v58, v19, 2, v0
	v_and_b32_e32 v0, 1, v59
	v_lshl_add_u64 v[4:5], v[0:1], 0, -1
	v_cmp_ne_u32_e32 vcc, 0, v0
	; wave barrier
	s_nop 1
	v_xor_b32_e32 v4, vcc_lo, v4
	v_xor_b32_e32 v0, vcc_hi, v5
	v_and_b32_e32 v60, exec_lo, v4
	v_lshlrev_b32_e32 v5, 30, v59
	v_mov_b32_e32 v4, v1
	v_cmp_gt_i64_e32 vcc, 0, v[4:5]
	v_not_b32_e32 v4, v5
	v_ashrrev_i32_e32 v4, 31, v4
	v_and_b32_e32 v0, exec_hi, v0
	v_xor_b32_e32 v5, vcc_hi, v4
	v_xor_b32_e32 v4, vcc_lo, v4
	v_and_b32_e32 v0, v0, v5
	v_and_b32_e32 v60, v60, v4
	v_lshlrev_b32_e32 v5, 29, v59
	v_mov_b32_e32 v4, v1
	v_cmp_gt_i64_e32 vcc, 0, v[4:5]
	v_not_b32_e32 v4, v5
	v_ashrrev_i32_e32 v4, 31, v4
	v_xor_b32_e32 v5, vcc_hi, v4
	v_xor_b32_e32 v4, vcc_lo, v4
	v_and_b32_e32 v0, v0, v5
	v_and_b32_e32 v60, v60, v4
	v_lshlrev_b32_e32 v5, 28, v59
	v_mov_b32_e32 v4, v1
	v_cmp_gt_i64_e32 vcc, 0, v[4:5]
	v_not_b32_e32 v4, v5
	v_ashrrev_i32_e32 v4, 31, v4
	;; [unrolled: 9-line block ×5, first 2 shown]
	v_xor_b32_e32 v5, vcc_hi, v4
	v_xor_b32_e32 v4, vcc_lo, v4
	v_and_b32_e32 v0, v0, v5
	v_lshlrev_b32_e32 v5, 24, v59
	v_and_b32_e32 v60, v60, v4
	v_mov_b32_e32 v4, v1
	v_not_b32_e32 v1, v5
	v_cmp_gt_i64_e32 vcc, 0, v[4:5]
	v_ashrrev_i32_e32 v1, 31, v1
	ds_read_b32 v57, v58 offset:16
	v_xor_b32_e32 v4, vcc_hi, v1
	v_xor_b32_e32 v5, vcc_lo, v1
	v_and_b32_e32 v1, v0, v4
	v_and_b32_e32 v0, v60, v5
	v_mbcnt_lo_u32_b32 v4, v0, 0
	v_mbcnt_hi_u32_b32 v59, v1, v4
	v_cmp_eq_u32_e32 vcc, 0, v59
	v_cmp_ne_u64_e64 s[0:1], 0, v[0:1]
	s_and_b64 s[4:5], s[0:1], vcc
	; wave barrier
	s_and_saveexec_b64 s[0:1], s[4:5]
	s_cbranch_execz .LBB24_221
; %bb.220:
	v_bcnt_u32_b32 v0, v0, 0
	v_bcnt_u32_b32 v0, v1, v0
	s_waitcnt lgkmcnt(0)
	v_add_u32_e32 v0, v57, v0
	ds_write_b32 v58, v0 offset:16
.LBB24_221:
	s_or_b64 exec, exec, s[0:1]
	s_waitcnt vmcnt(3)
	v_xor_b32_e32 v34, 0x80000000, v34
	v_lshrrev_b32_e32 v0, s80, v34
	v_and_b32_e32 v62, s11, v0
	v_mul_lo_u32 v0, v62, 20
	v_lshl_add_u32 v61, v19, 2, v0
	v_and_b32_e32 v0, 1, v62
	v_mov_b32_e32 v1, 0
	v_lshl_add_u64 v[4:5], v[0:1], 0, -1
	v_cmp_ne_u32_e32 vcc, 0, v0
	; wave barrier
	s_nop 1
	v_xor_b32_e32 v4, vcc_lo, v4
	v_xor_b32_e32 v0, vcc_hi, v5
	v_and_b32_e32 v63, exec_lo, v4
	v_lshlrev_b32_e32 v5, 30, v62
	v_mov_b32_e32 v4, v1
	v_cmp_gt_i64_e32 vcc, 0, v[4:5]
	v_not_b32_e32 v4, v5
	v_ashrrev_i32_e32 v4, 31, v4
	v_and_b32_e32 v0, exec_hi, v0
	v_xor_b32_e32 v5, vcc_hi, v4
	v_xor_b32_e32 v4, vcc_lo, v4
	v_and_b32_e32 v0, v0, v5
	v_and_b32_e32 v63, v63, v4
	v_lshlrev_b32_e32 v5, 29, v62
	v_mov_b32_e32 v4, v1
	v_cmp_gt_i64_e32 vcc, 0, v[4:5]
	v_not_b32_e32 v4, v5
	v_ashrrev_i32_e32 v4, 31, v4
	v_xor_b32_e32 v5, vcc_hi, v4
	v_xor_b32_e32 v4, vcc_lo, v4
	v_and_b32_e32 v0, v0, v5
	v_and_b32_e32 v63, v63, v4
	v_lshlrev_b32_e32 v5, 28, v62
	v_mov_b32_e32 v4, v1
	v_cmp_gt_i64_e32 vcc, 0, v[4:5]
	v_not_b32_e32 v4, v5
	v_ashrrev_i32_e32 v4, 31, v4
	;; [unrolled: 9-line block ×6, first 2 shown]
	v_xor_b32_e32 v5, vcc_hi, v4
	v_xor_b32_e32 v4, vcc_lo, v4
	ds_read_b32 v60, v61 offset:16
	v_and_b32_e32 v4, v63, v4
	v_and_b32_e32 v5, v0, v5
	v_mbcnt_lo_u32_b32 v0, v4, 0
	v_mbcnt_hi_u32_b32 v62, v5, v0
	v_cmp_eq_u32_e32 vcc, 0, v62
	v_cmp_ne_u64_e64 s[0:1], 0, v[4:5]
	s_and_b64 s[4:5], s[0:1], vcc
	; wave barrier
	s_and_saveexec_b64 s[0:1], s[4:5]
	s_cbranch_execz .LBB24_223
; %bb.222:
	v_bcnt_u32_b32 v0, v4, 0
	v_bcnt_u32_b32 v0, v5, v0
	s_waitcnt lgkmcnt(0)
	v_add_u32_e32 v0, v60, v0
	ds_write_b32 v61, v0 offset:16
.LBB24_223:
	s_or_b64 exec, exec, s[0:1]
	s_waitcnt vmcnt(2)
	v_xor_b32_e32 v29, 0x80000000, v29
	v_lshrrev_b32_e32 v0, s80, v29
	v_and_b32_e32 v65, s11, v0
	v_mul_lo_u32 v0, v65, 20
	v_lshl_add_u32 v64, v19, 2, v0
	v_and_b32_e32 v0, 1, v65
	v_lshl_add_u64 v[4:5], v[0:1], 0, -1
	v_cmp_ne_u32_e32 vcc, 0, v0
	; wave barrier
	s_nop 1
	v_xor_b32_e32 v4, vcc_lo, v4
	v_xor_b32_e32 v0, vcc_hi, v5
	v_and_b32_e32 v66, exec_lo, v4
	v_lshlrev_b32_e32 v5, 30, v65
	v_mov_b32_e32 v4, v1
	v_cmp_gt_i64_e32 vcc, 0, v[4:5]
	v_not_b32_e32 v4, v5
	v_ashrrev_i32_e32 v4, 31, v4
	v_and_b32_e32 v0, exec_hi, v0
	v_xor_b32_e32 v5, vcc_hi, v4
	v_xor_b32_e32 v4, vcc_lo, v4
	v_and_b32_e32 v0, v0, v5
	v_and_b32_e32 v66, v66, v4
	v_lshlrev_b32_e32 v5, 29, v65
	v_mov_b32_e32 v4, v1
	v_cmp_gt_i64_e32 vcc, 0, v[4:5]
	v_not_b32_e32 v4, v5
	v_ashrrev_i32_e32 v4, 31, v4
	v_xor_b32_e32 v5, vcc_hi, v4
	v_xor_b32_e32 v4, vcc_lo, v4
	v_and_b32_e32 v0, v0, v5
	v_and_b32_e32 v66, v66, v4
	v_lshlrev_b32_e32 v5, 28, v65
	v_mov_b32_e32 v4, v1
	v_cmp_gt_i64_e32 vcc, 0, v[4:5]
	v_not_b32_e32 v4, v5
	v_ashrrev_i32_e32 v4, 31, v4
	;; [unrolled: 9-line block ×5, first 2 shown]
	v_xor_b32_e32 v5, vcc_hi, v4
	v_xor_b32_e32 v4, vcc_lo, v4
	v_and_b32_e32 v0, v0, v5
	v_lshlrev_b32_e32 v5, 24, v65
	v_and_b32_e32 v66, v66, v4
	v_mov_b32_e32 v4, v1
	v_not_b32_e32 v1, v5
	v_cmp_gt_i64_e32 vcc, 0, v[4:5]
	v_ashrrev_i32_e32 v1, 31, v1
	ds_read_b32 v63, v64 offset:16
	v_xor_b32_e32 v4, vcc_hi, v1
	v_xor_b32_e32 v5, vcc_lo, v1
	v_and_b32_e32 v1, v0, v4
	v_and_b32_e32 v0, v66, v5
	v_mbcnt_lo_u32_b32 v4, v0, 0
	v_mbcnt_hi_u32_b32 v66, v1, v4
	v_cmp_eq_u32_e32 vcc, 0, v66
	v_cmp_ne_u64_e64 s[0:1], 0, v[0:1]
	s_and_b64 s[4:5], s[0:1], vcc
	; wave barrier
	s_and_saveexec_b64 s[0:1], s[4:5]
	s_cbranch_execz .LBB24_225
; %bb.224:
	v_bcnt_u32_b32 v0, v0, 0
	v_bcnt_u32_b32 v0, v1, v0
	s_waitcnt lgkmcnt(0)
	v_add_u32_e32 v0, v63, v0
	ds_write_b32 v64, v0 offset:16
.LBB24_225:
	s_or_b64 exec, exec, s[0:1]
	s_waitcnt vmcnt(1)
	v_xor_b32_e32 v65, 0x80000000, v24
	v_lshrrev_b32_e32 v0, s80, v65
	v_and_b32_e32 v68, s11, v0
	v_mul_lo_u32 v0, v68, 20
	v_lshl_add_u32 v24, v19, 2, v0
	v_and_b32_e32 v0, 1, v68
	v_mov_b32_e32 v1, 0
	v_lshl_add_u64 v[4:5], v[0:1], 0, -1
	v_cmp_ne_u32_e32 vcc, 0, v0
	; wave barrier
	s_nop 1
	v_xor_b32_e32 v4, vcc_lo, v4
	v_xor_b32_e32 v0, vcc_hi, v5
	v_and_b32_e32 v69, exec_lo, v4
	v_lshlrev_b32_e32 v5, 30, v68
	v_mov_b32_e32 v4, v1
	v_cmp_gt_i64_e32 vcc, 0, v[4:5]
	v_not_b32_e32 v4, v5
	v_ashrrev_i32_e32 v4, 31, v4
	v_and_b32_e32 v0, exec_hi, v0
	v_xor_b32_e32 v5, vcc_hi, v4
	v_xor_b32_e32 v4, vcc_lo, v4
	v_and_b32_e32 v0, v0, v5
	v_and_b32_e32 v69, v69, v4
	v_lshlrev_b32_e32 v5, 29, v68
	v_mov_b32_e32 v4, v1
	v_cmp_gt_i64_e32 vcc, 0, v[4:5]
	v_not_b32_e32 v4, v5
	v_ashrrev_i32_e32 v4, 31, v4
	v_xor_b32_e32 v5, vcc_hi, v4
	v_xor_b32_e32 v4, vcc_lo, v4
	v_and_b32_e32 v0, v0, v5
	v_and_b32_e32 v69, v69, v4
	v_lshlrev_b32_e32 v5, 28, v68
	v_mov_b32_e32 v4, v1
	v_cmp_gt_i64_e32 vcc, 0, v[4:5]
	v_not_b32_e32 v4, v5
	v_ashrrev_i32_e32 v4, 31, v4
	;; [unrolled: 9-line block ×6, first 2 shown]
	v_xor_b32_e32 v5, vcc_hi, v4
	v_xor_b32_e32 v4, vcc_lo, v4
	ds_read_b32 v67, v24 offset:16
	v_and_b32_e32 v4, v69, v4
	v_and_b32_e32 v5, v0, v5
	v_mbcnt_lo_u32_b32 v0, v4, 0
	v_mbcnt_hi_u32_b32 v69, v5, v0
	v_cmp_eq_u32_e32 vcc, 0, v69
	v_cmp_ne_u64_e64 s[0:1], 0, v[4:5]
	s_and_b64 s[4:5], s[0:1], vcc
	; wave barrier
	s_and_saveexec_b64 s[0:1], s[4:5]
	s_cbranch_execz .LBB24_227
; %bb.226:
	v_bcnt_u32_b32 v0, v4, 0
	v_bcnt_u32_b32 v0, v5, v0
	s_waitcnt lgkmcnt(0)
	v_add_u32_e32 v0, v67, v0
	ds_write_b32 v24, v0 offset:16
.LBB24_227:
	s_or_b64 exec, exec, s[0:1]
	s_waitcnt vmcnt(0)
	v_xor_b32_e32 v68, 0x80000000, v6
	v_lshrrev_b32_e32 v0, s80, v68
	v_and_b32_e32 v6, s11, v0
	v_mul_lo_u32 v0, v6, 20
	v_lshl_add_u32 v19, v19, 2, v0
	v_and_b32_e32 v0, 1, v6
	v_lshl_add_u64 v[4:5], v[0:1], 0, -1
	v_cmp_ne_u32_e32 vcc, 0, v0
	; wave barrier
	s_nop 1
	v_xor_b32_e32 v4, vcc_lo, v4
	v_xor_b32_e32 v0, vcc_hi, v5
	v_and_b32_e32 v71, exec_lo, v4
	v_lshlrev_b32_e32 v5, 30, v6
	v_mov_b32_e32 v4, v1
	v_cmp_gt_i64_e32 vcc, 0, v[4:5]
	v_not_b32_e32 v4, v5
	v_ashrrev_i32_e32 v4, 31, v4
	v_and_b32_e32 v0, exec_hi, v0
	v_xor_b32_e32 v5, vcc_hi, v4
	v_xor_b32_e32 v4, vcc_lo, v4
	v_and_b32_e32 v0, v0, v5
	v_and_b32_e32 v71, v71, v4
	v_lshlrev_b32_e32 v5, 29, v6
	v_mov_b32_e32 v4, v1
	v_cmp_gt_i64_e32 vcc, 0, v[4:5]
	v_not_b32_e32 v4, v5
	v_ashrrev_i32_e32 v4, 31, v4
	v_xor_b32_e32 v5, vcc_hi, v4
	v_xor_b32_e32 v4, vcc_lo, v4
	v_and_b32_e32 v0, v0, v5
	v_and_b32_e32 v71, v71, v4
	v_lshlrev_b32_e32 v5, 28, v6
	v_mov_b32_e32 v4, v1
	v_cmp_gt_i64_e32 vcc, 0, v[4:5]
	v_not_b32_e32 v4, v5
	v_ashrrev_i32_e32 v4, 31, v4
	;; [unrolled: 9-line block ×5, first 2 shown]
	v_xor_b32_e32 v5, vcc_hi, v4
	v_xor_b32_e32 v4, vcc_lo, v4
	v_and_b32_e32 v0, v0, v5
	v_lshlrev_b32_e32 v5, 24, v6
	v_and_b32_e32 v71, v71, v4
	v_mov_b32_e32 v4, v1
	v_not_b32_e32 v1, v5
	v_cmp_gt_i64_e32 vcc, 0, v[4:5]
	v_ashrrev_i32_e32 v1, 31, v1
	ds_read_b32 v70, v19 offset:16
	v_xor_b32_e32 v4, vcc_hi, v1
	v_xor_b32_e32 v5, vcc_lo, v1
	v_and_b32_e32 v1, v0, v4
	v_and_b32_e32 v0, v71, v5
	v_mbcnt_lo_u32_b32 v4, v0, 0
	v_mbcnt_hi_u32_b32 v71, v1, v4
	v_cmp_eq_u32_e32 vcc, 0, v71
	v_cmp_ne_u64_e64 s[0:1], 0, v[0:1]
	s_and_b64 s[4:5], s[0:1], vcc
	; wave barrier
	s_and_saveexec_b64 s[0:1], s[4:5]
	s_cbranch_execz .LBB24_229
; %bb.228:
	v_bcnt_u32_b32 v0, v0, 0
	v_bcnt_u32_b32 v0, v1, v0
	s_waitcnt lgkmcnt(0)
	v_add_u32_e32 v0, v70, v0
	ds_write_b32 v19, v0 offset:16
.LBB24_229:
	s_or_b64 exec, exec, s[0:1]
	; wave barrier
	s_waitcnt lgkmcnt(0)
	s_barrier
	ds_read2_b32 v[4:5], v7 offset0:4 offset1:5
	ds_read2_b32 v[0:1], v7 offset0:6 offset1:7
	ds_read_b32 v6, v7 offset:32
	s_waitcnt lgkmcnt(1)
	v_add3_u32 v72, v5, v4, v0
	s_waitcnt lgkmcnt(0)
	v_add3_u32 v6, v72, v1, v6
	v_and_b32_e32 v72, 15, v14
	v_cmp_ne_u32_e32 vcc, 0, v72
	v_mov_b32_dpp v73, v6 row_shr:1 row_mask:0xf bank_mask:0xf
	s_nop 0
	v_cndmask_b32_e32 v73, 0, v73, vcc
	v_add_u32_e32 v6, v73, v6
	v_cmp_lt_u32_e32 vcc, 1, v72
	s_nop 0
	v_mov_b32_dpp v73, v6 row_shr:2 row_mask:0xf bank_mask:0xf
	v_cndmask_b32_e32 v73, 0, v73, vcc
	v_add_u32_e32 v6, v6, v73
	v_cmp_lt_u32_e32 vcc, 3, v72
	s_nop 0
	v_mov_b32_dpp v73, v6 row_shr:4 row_mask:0xf bank_mask:0xf
	;; [unrolled: 5-line block ×3, first 2 shown]
	v_cndmask_b32_e32 v72, 0, v73, vcc
	v_add_u32_e32 v6, v6, v72
	v_bfe_i32 v73, v14, 4, 1
	v_cmp_lt_u32_e32 vcc, 31, v14
	v_mov_b32_dpp v72, v6 row_bcast:15 row_mask:0xf bank_mask:0xf
	v_and_b32_e32 v72, v73, v72
	v_add_u32_e32 v6, v6, v72
	v_lshrrev_b32_e32 v73, 6, v2
	s_nop 0
	v_mov_b32_dpp v72, v6 row_bcast:31 row_mask:0xf bank_mask:0xf
	v_cndmask_b32_e32 v72, 0, v72, vcc
	v_add_u32_e32 v72, v6, v72
	v_and_b32_e32 v6, 0x3c0, v2
	v_min_u32_e32 v6, 0xc0, v6
	v_or_b32_e32 v6, 63, v6
	v_cmp_eq_u32_e32 vcc, v2, v6
	s_and_saveexec_b64 s[0:1], vcc
; %bb.230:
	v_lshlrev_b32_e32 v6, 2, v73
	ds_write_b32 v6, v72
; %bb.231:
	s_or_b64 exec, exec, s[0:1]
	v_cmp_gt_u32_e32 vcc, 4, v2
	v_lshlrev_b32_e32 v6, 2, v2
	s_waitcnt lgkmcnt(0)
	s_barrier
	s_and_saveexec_b64 s[0:1], vcc
	s_cbranch_execz .LBB24_233
; %bb.232:
	ds_read_b32 v74, v6
	v_and_b32_e32 v75, 3, v14
	v_cmp_ne_u32_e32 vcc, 0, v75
	s_waitcnt lgkmcnt(0)
	v_mov_b32_dpp v76, v74 row_shr:1 row_mask:0xf bank_mask:0xf
	v_cndmask_b32_e32 v76, 0, v76, vcc
	v_add_u32_e32 v74, v76, v74
	v_cmp_lt_u32_e32 vcc, 1, v75
	s_nop 0
	v_mov_b32_dpp v76, v74 row_shr:2 row_mask:0xf bank_mask:0xf
	v_cndmask_b32_e32 v75, 0, v76, vcc
	v_add_u32_e32 v74, v74, v75
	ds_write_b32 v6, v74
.LBB24_233:
	s_or_b64 exec, exec, s[0:1]
	v_cmp_lt_u32_e32 vcc, 63, v2
	v_mov_b32_e32 v74, 0
	s_waitcnt lgkmcnt(0)
	s_barrier
	s_and_saveexec_b64 s[0:1], vcc
; %bb.234:
	v_lshl_add_u32 v73, v73, 2, -4
	ds_read_b32 v74, v73
; %bb.235:
	s_or_b64 exec, exec, s[0:1]
	v_add_u32_e32 v73, -1, v14
	v_and_b32_e32 v75, 64, v14
	v_cmp_lt_i32_e32 vcc, v73, v75
	s_waitcnt lgkmcnt(0)
	v_add_u32_e32 v72, v74, v72
	s_movk_i32 s0, 0x100
	v_cndmask_b32_e32 v73, v73, v14, vcc
	v_lshlrev_b32_e32 v73, 2, v73
	ds_bpermute_b32 v72, v73, v72
	v_cmp_eq_u32_e32 vcc, 0, v14
	s_waitcnt lgkmcnt(0)
	s_nop 0
	v_cndmask_b32_e32 v72, v72, v74, vcc
	v_cmp_ne_u32_e32 vcc, 0, v2
	s_nop 1
	v_cndmask_b32_e32 v72, 0, v72, vcc
	v_add_u32_e32 v4, v72, v4
	v_add_u32_e32 v5, v4, v5
	;; [unrolled: 1-line block ×4, first 2 shown]
	ds_write2_b32 v7, v72, v4 offset0:4 offset1:5
	ds_write2_b32 v7, v5, v0 offset0:6 offset1:7
	ds_write_b32 v7, v1 offset:32
	s_waitcnt lgkmcnt(0)
	s_barrier
	ds_read_b32 v4, v43 offset:16
	ds_read_b32 v5, v48 offset:16
	;; [unrolled: 1-line block ×17, first 2 shown]
	v_add_u32_e32 v7, 1, v2
	v_cmp_ne_u32_e32 vcc, s0, v7
	v_mov_b32_e32 v1, 0x1000
	s_and_saveexec_b64 s[0:1], vcc
; %bb.236:
	v_mul_u32_u24_e32 v1, 20, v7
	ds_read_b32 v1, v1 offset:16
; %bb.237:
	s_or_b64 exec, exec, s[0:1]
	s_waitcnt lgkmcnt(7)
	v_add_u32_e32 v48, v9, v11
	s_waitcnt lgkmcnt(6)
	v_add3_u32 v43, v16, v12, v13
	s_waitcnt lgkmcnt(3)
	v_add3_u32 v28, v31, v27, v23
	s_waitcnt lgkmcnt(2)
	v_add3_u32 v27, v36, v32, v24
	v_add3_u32 v24, v46, v42, v4
	v_lshlrev_b32_e32 v4, 2, v48
	v_add3_u32 v38, v21, v17, v18
	s_waitcnt lgkmcnt(0)
	s_barrier
	ds_write_b32 v4, v8 offset:2048
	v_lshlrev_b32_e32 v4, 2, v43
	v_add3_u32 v33, v26, v22, v19
	ds_write_b32 v4, v10 offset:2048
	v_lshlrev_b32_e32 v4, 2, v38
	ds_write_b32 v4, v15 offset:2048
	v_lshlrev_b32_e32 v4, 2, v33
	;; [unrolled: 2-line block ×3, first 2 shown]
	v_add3_u32 v26, v41, v37, v74
	ds_write_b32 v4, v25 offset:2048
	v_lshlrev_b32_e32 v4, 2, v27
	ds_write_b32 v4, v30 offset:2048
	v_lshlrev_b32_e32 v4, 2, v26
	v_add3_u32 v23, v50, v47, v5
	ds_write_b32 v4, v35 offset:2048
	v_lshlrev_b32_e32 v4, 2, v24
	v_add3_u32 v22, v53, v51, v52
	;; [unrolled: 3-line block ×8, first 2 shown]
	ds_write_b32 v4, v29 offset:2048
	v_lshlrev_b32_e32 v4, 2, v16
	ds_write_b32 v4, v65 offset:2048
	v_lshlrev_b32_e32 v4, 2, v5
	ds_write_b32 v4, v68 offset:2048
	v_sub_u32_e32 v4, v1, v0
	v_lshl_add_u32 v10, s2, 8, v2
	v_mov_b32_e32 v11, 0
	v_lshl_add_u64 v[8:9], v[10:11], 2, s[84:85]
	v_or_b32_e32 v1, 2.0, v4
	s_mov_b64 s[0:1], 0
	s_brev_b32 s12, -4
	v_mov_b32_e32 v7, 0
	s_waitcnt lgkmcnt(0)
	s_barrier
	global_store_dword v[8:9], v1, off sc1
                                        ; implicit-def: $sgpr4_sgpr5
	s_branch .LBB24_240
.LBB24_238:                             ;   in Loop: Header=BB24_240 Depth=1
	s_or_b64 exec, exec, s[6:7]
.LBB24_239:                             ;   in Loop: Header=BB24_240 Depth=1
	s_or_b64 exec, exec, s[4:5]
	v_and_b32_e32 v10, 0x3fffffff, v1
	v_add_u32_e32 v7, v10, v7
	v_cmp_gt_i32_e64 s[4:5], -2.0, v1
	s_and_b64 s[6:7], exec, s[4:5]
	s_or_b64 s[0:1], s[6:7], s[0:1]
	s_andn2_b64 exec, exec, s[0:1]
	s_cbranch_execz .LBB24_245
.LBB24_240:                             ; =>This Loop Header: Depth=1
                                        ;     Child Loop BB24_243 Depth 2
	s_or_b64 s[4:5], s[4:5], exec
	s_cmp_eq_u32 s3, 0
	s_cbranch_scc1 .LBB24_244
; %bb.241:                              ;   in Loop: Header=BB24_240 Depth=1
	s_add_i32 s3, s3, -1
	v_lshl_add_u32 v10, s3, 8, v2
	v_lshl_add_u64 v[12:13], v[10:11], 2, s[84:85]
	global_load_dword v1, v[12:13], off sc1
	s_waitcnt vmcnt(0)
	v_cmp_gt_u32_e32 vcc, 2.0, v1
	s_and_saveexec_b64 s[4:5], vcc
	s_cbranch_execz .LBB24_239
; %bb.242:                              ;   in Loop: Header=BB24_240 Depth=1
	s_mov_b64 s[6:7], 0
.LBB24_243:                             ;   Parent Loop BB24_240 Depth=1
                                        ; =>  This Inner Loop Header: Depth=2
	global_load_dword v1, v[12:13], off sc1
	s_waitcnt vmcnt(0)
	v_cmp_lt_u32_e32 vcc, s12, v1
	s_or_b64 s[6:7], vcc, s[6:7]
	s_andn2_b64 exec, exec, s[6:7]
	s_cbranch_execnz .LBB24_243
	s_branch .LBB24_238
.LBB24_244:                             ;   in Loop: Header=BB24_240 Depth=1
                                        ; implicit-def: $sgpr3
	s_and_b64 s[6:7], exec, s[4:5]
	s_or_b64 s[0:1], s[6:7], s[0:1]
	s_andn2_b64 exec, exec, s[0:1]
	s_cbranch_execnz .LBB24_240
.LBB24_245:
	s_or_b64 exec, exec, s[0:1]
	v_add_u32_e32 v1, v7, v4
	v_or_b32_e32 v1, 0x80000000, v1
	v_lshlrev_b32_e32 v10, 3, v2
	global_store_dword v[8:9], v1, off sc1
	global_load_dwordx2 v[8:9], v10, s[76:77]
	v_sub_co_u32_e32 v12, vcc, v7, v0
	v_sub_u32_e32 v15, v10, v6
	s_nop 0
	v_subb_co_u32_e64 v13, s[0:1], 0, 0, vcc
	v_mov_b32_e32 v1, 0
	v_mov_b32_e32 v7, v1
	v_or_b32_e32 v30, 0x1000, v6
	v_add_u32_e32 v34, 0x1400, v6
	v_add_u32_e32 v36, 0x1800, v6
	;; [unrolled: 1-line block ×3, first 2 shown]
	v_mov_b32_e32 v31, v1
	v_mov_b32_e32 v35, v1
	;; [unrolled: 1-line block ×4, first 2 shown]
	v_or_b32_e32 v11, 0x800, v2
	s_lshl_b64 s[0:1], s[8:9], 1
	s_add_u32 s0, s72, s0
	s_addc_u32 s1, s73, s1
	s_add_i32 s10, s10, -1
	s_cmp_lg_u32 s2, s10
	s_waitcnt vmcnt(0)
	v_lshl_add_u64 v[8:9], v[12:13], 0, v[8:9]
	ds_write_b64 v10, v[8:9]
	s_waitcnt lgkmcnt(0)
	s_barrier
	ds_read2st64_b32 v[8:9], v15 offset0:8 offset1:12
	ds_read2st64_b32 v[12:13], v15 offset0:16 offset1:20
	;; [unrolled: 1-line block ×6, first 2 shown]
	s_waitcnt lgkmcnt(5)
	v_lshrrev_b32_e32 v20, s80, v8
	v_xor_b32_e32 v25, 0x80000000, v8
	v_lshrrev_b32_e32 v8, s80, v9
	v_xor_b32_e32 v29, 0x80000000, v9
	s_waitcnt lgkmcnt(4)
	v_lshrrev_b32_e32 v9, s80, v12
	v_xor_b32_e32 v32, 0x80000000, v12
	v_lshrrev_b32_e32 v12, s80, v13
	v_xor_b32_e32 v39, 0x80000000, v13
	;; [unrolled: 5-line block ×4, first 2 shown]
	s_waitcnt lgkmcnt(1)
	v_lshrrev_b32_e32 v47, s80, v50
	v_and_b32_e32 v20, s11, v20
	v_and_b32_e32 v8, s11, v8
	;; [unrolled: 1-line block ×9, first 2 shown]
	v_lshlrev_b32_e32 v20, 3, v20
	v_lshlrev_b32_e32 v64, 3, v8
	v_lshlrev_b32_e32 v65, 3, v9
	v_lshlrev_b32_e32 v66, 3, v12
	v_lshlrev_b32_e32 v67, 3, v13
	v_lshlrev_b32_e32 v68, 3, v44
	v_lshlrev_b32_e32 v69, 3, v45
	v_lshlrev_b32_e32 v70, 3, v46
	v_lshlrev_b32_e32 v71, 3, v47
	ds_read_b64 v[8:9], v20
	ds_read_b64 v[12:13], v64
	;; [unrolled: 1-line block ×8, first 2 shown]
	s_waitcnt lgkmcnt(7)
	v_lshl_add_u64 v[8:9], v[8:9], 2, s[70:71]
	s_waitcnt lgkmcnt(6)
	v_lshl_add_u64 v[12:13], v[12:13], 2, s[70:71]
	;; [unrolled: 2-line block ×8, first 2 shown]
	v_lshl_add_u64 v[8:9], v[8:9], 0, v[6:7]
	v_lshl_add_u64 v[12:13], v[12:13], 0, v[6:7]
	;; [unrolled: 1-line block ×8, first 2 shown]
	global_store_dword v[8:9], v25, off
	global_store_dword v[12:13], v29, off offset:1024
	global_store_dword v[44:45], v32, off offset:2048
	;; [unrolled: 1-line block ×3, first 2 shown]
	global_store_dword v[30:31], v42, off
	global_store_dword v[34:35], v49, off
	;; [unrolled: 1-line block ×4, first 2 shown]
	v_lshrrev_b32_e32 v8, s80, v51
	v_and_b32_e32 v8, s11, v8
	ds_read_b64 v[6:7], v71
	v_lshlrev_b32_e32 v25, 3, v8
	v_lshrrev_b32_e32 v8, s80, v52
	v_and_b32_e32 v8, s11, v8
	v_lshlrev_b32_e32 v29, 3, v8
	v_lshrrev_b32_e32 v8, s80, v53
	v_and_b32_e32 v8, s11, v8
	v_lshlrev_b32_e32 v32, 3, v8
	ds_read_b64 v[8:9], v25
	ds_read_b64 v[12:13], v29
	;; [unrolled: 1-line block ×3, first 2 shown]
	s_waitcnt lgkmcnt(3)
	v_lshl_add_u64 v[6:7], v[6:7], 2, s[70:71]
	v_lshlrev_b32_e32 v34, 2, v11
	v_mov_b32_e32 v35, v1
	v_xor_b32_e32 v50, 0x80000000, v50
	v_lshl_add_u64 v[6:7], v[6:7], 0, v[34:35]
	v_add_u32_e32 v39, 0x900, v2
	global_store_dword v[6:7], v50, off
	s_waitcnt lgkmcnt(2)
	v_lshl_add_u64 v[6:7], v[8:9], 2, s[70:71]
	v_lshlrev_b32_e32 v8, 2, v39
	v_mov_b32_e32 v9, v1
	v_xor_b32_e32 v34, 0x80000000, v51
	v_lshl_add_u64 v[6:7], v[6:7], 0, v[8:9]
	global_store_dword v[6:7], v34, off
	v_lshlrev_b32_e32 v6, 1, v14
	v_mov_b32_e32 v7, v1
	v_lshl_add_u64 v[6:7], s[0:1], 0, v[6:7]
	v_lshlrev_b32_e32 v8, 1, v3
	v_lshl_add_u64 v[6:7], v[6:7], 0, v[8:9]
	global_load_ushort v3, v[6:7], off
	global_load_ushort v41, v[6:7], off offset:128
	global_load_ushort v42, v[6:7], off offset:256
	;; [unrolled: 1-line block ×7, first 2 shown]
	v_add_u32_e32 v40, 0xa00, v2
	s_waitcnt lgkmcnt(1)
	v_lshl_add_u64 v[8:9], v[12:13], 2, s[70:71]
	v_lshlrev_b32_e32 v12, 2, v40
	v_mov_b32_e32 v13, v1
	global_load_ushort v51, v[6:7], off offset:1024
	v_xor_b32_e32 v14, 0x80000000, v52
	v_lshl_add_u64 v[8:9], v[8:9], 0, v[12:13]
	global_load_ushort v52, v[6:7], off offset:1152
	v_add_u32_e32 v50, 0xb00, v2
	global_store_dword v[8:9], v14, off
	v_xor_b32_e32 v14, 0x80000000, v53
	global_load_ushort v53, v[6:7], off offset:1280
	global_load_ushort v54, v[6:7], off offset:1408
	;; [unrolled: 1-line block ×6, first 2 shown]
	s_waitcnt lgkmcnt(0)
	v_lshl_add_u64 v[8:9], v[30:31], 2, s[70:71]
	v_lshlrev_b32_e32 v12, 2, v50
	v_lshl_add_u64 v[8:9], v[8:9], 0, v[12:13]
	ds_read2st64_b32 v[12:13], v15 offset0:56 offset1:60
	global_store_dword v[8:9], v14, off
	v_or_b32_e32 v59, 0xc00, v2
	v_lshlrev_b32_e32 v36, 2, v59
	v_mov_b32_e32 v37, v1
	s_waitcnt lgkmcnt(0)
	v_lshrrev_b32_e32 v6, s80, v12
	v_and_b32_e32 v6, s11, v6
	v_lshlrev_b32_e32 v60, 3, v6
	ds_read2st64_b32 v[6:7], v15 offset0:64 offset1:68
	ds_read_b64 v[8:9], v60
	v_lshrrev_b32_e32 v14, s80, v13
	v_and_b32_e32 v14, s11, v14
	v_lshlrev_b32_e32 v61, 3, v14
	s_waitcnt lgkmcnt(1)
	v_lshrrev_b32_e32 v14, s80, v6
	v_and_b32_e32 v14, s11, v14
	v_lshlrev_b32_e32 v62, 3, v14
	v_lshrrev_b32_e32 v14, s80, v7
	v_and_b32_e32 v14, s11, v14
	v_lshlrev_b32_e32 v63, 3, v14
	ds_read_b64 v[14:15], v61
	ds_read_b64 v[30:31], v62
	;; [unrolled: 1-line block ×3, first 2 shown]
	s_waitcnt lgkmcnt(3)
	v_lshl_add_u64 v[8:9], v[8:9], 2, s[70:71]
	v_xor_b32_e32 v12, 0x80000000, v12
	v_lshl_add_u64 v[8:9], v[8:9], 0, v[36:37]
	v_add_u32_e32 v36, 0xd00, v2
	global_store_dword v[8:9], v12, off
	v_xor_b32_e32 v37, 0x80000000, v13
	s_waitcnt lgkmcnt(2)
	v_lshl_add_u64 v[8:9], v[14:15], 2, s[70:71]
	v_lshlrev_b32_e32 v12, 2, v36
	v_mov_b32_e32 v13, v1
	v_lshl_add_u64 v[8:9], v[8:9], 0, v[12:13]
	global_store_dword v[8:9], v37, off
	v_add_u32_e32 v37, 0xe00, v2
	s_waitcnt lgkmcnt(1)
	v_lshl_add_u64 v[8:9], v[30:31], 2, s[70:71]
	v_lshlrev_b32_e32 v12, 2, v37
	v_xor_b32_e32 v6, 0x80000000, v6
	v_lshl_add_u64 v[8:9], v[8:9], 0, v[12:13]
	v_add_u32_e32 v30, 0xf00, v2
	global_store_dword v[8:9], v6, off
	v_xor_b32_e32 v12, 0x80000000, v7
	s_waitcnt lgkmcnt(0)
	v_lshl_add_u64 v[6:7], v[34:35], 2, s[70:71]
	v_lshlrev_b32_e32 v8, 2, v30
	v_mov_b32_e32 v9, v1
	v_lshl_add_u64 v[6:7], v[6:7], 0, v[8:9]
	global_store_dword v[6:7], v12, off
	v_lshlrev_b32_e32 v6, 1, v48
	s_barrier
	v_lshlrev_b32_e32 v2, 1, v2
	s_waitcnt vmcnt(21)
	ds_write_b16 v6, v3 offset:2048
	v_lshlrev_b32_e32 v3, 1, v43
	s_waitcnt vmcnt(20)
	ds_write_b16 v3, v41 offset:2048
	;; [unrolled: 3-line block ×16, first 2 shown]
	s_waitcnt lgkmcnt(0)
	s_barrier
	ds_read_b64 v[6:7], v20
	ds_read_b64 v[8:9], v64
	;; [unrolled: 1-line block ×4, first 2 shown]
	v_mov_b32_e32 v3, v1
	ds_read_u16 v5, v2 offset:2048
	ds_read_u16 v16, v2 offset:2560
	;; [unrolled: 1-line block ×8, first 2 shown]
	s_waitcnt lgkmcnt(11)
	v_lshl_add_u64 v[6:7], v[6:7], 1, s[74:75]
	v_lshl_add_u64 v[6:7], v[6:7], 0, v[2:3]
	s_waitcnt lgkmcnt(7)
	global_store_short v[6:7], v5, off
	v_lshl_add_u64 v[6:7], v[8:9], 1, s[74:75]
	v_lshl_add_u64 v[6:7], v[6:7], 0, v[2:3]
	s_waitcnt lgkmcnt(6)
	global_store_short v[6:7], v16, off offset:512
	v_lshl_add_u64 v[6:7], v[12:13], 1, s[74:75]
	v_lshl_add_u64 v[6:7], v[6:7], 0, v[2:3]
	s_waitcnt lgkmcnt(5)
	global_store_short v[6:7], v17, off offset:1024
	v_lshl_add_u64 v[6:7], v[14:15], 1, s[74:75]
	v_lshl_add_u64 v[6:7], v[6:7], 0, v[2:3]
	ds_read_b64 v[8:9], v67
	s_waitcnt lgkmcnt(5)
	global_store_short v[6:7], v18, off offset:1536
	ds_read_b64 v[6:7], v68
	ds_read_b64 v[12:13], v69
	;; [unrolled: 1-line block ×3, first 2 shown]
	v_lshlrev_b32_e32 v16, 1, v11
	v_mov_b32_e32 v17, v1
	s_waitcnt lgkmcnt(3)
	v_lshl_add_u64 v[8:9], v[8:9], 1, s[74:75]
	s_waitcnt lgkmcnt(2)
	v_lshl_add_u64 v[6:7], v[6:7], 1, s[74:75]
	v_lshl_add_u64 v[8:9], v[8:9], 0, v[2:3]
	;; [unrolled: 1-line block ×3, first 2 shown]
	global_store_short v[8:9], v19, off offset:2048
	global_store_short v[6:7], v20, off offset:2560
	s_waitcnt lgkmcnt(1)
	v_lshl_add_u64 v[6:7], v[12:13], 1, s[74:75]
	v_lshl_add_u64 v[6:7], v[6:7], 0, v[2:3]
	ds_read_b64 v[8:9], v71
	global_store_short v[6:7], v21, off offset:3072
	s_waitcnt lgkmcnt(1)
	v_lshl_add_u64 v[6:7], v[14:15], 1, s[74:75]
	v_lshl_add_u64 v[6:7], v[6:7], 0, v[2:3]
	global_store_short v[6:7], v22, off offset:3584
	ds_read_b64 v[6:7], v25
	ds_read_b64 v[12:13], v29
	;; [unrolled: 1-line block ×3, first 2 shown]
	s_waitcnt lgkmcnt(3)
	v_lshl_add_u64 v[8:9], v[8:9], 1, s[74:75]
	v_lshl_add_u64 v[8:9], v[8:9], 0, v[16:17]
	ds_read_u16 v3, v2 offset:6144
	ds_read_u16 v5, v2 offset:6656
	;; [unrolled: 1-line block ×8, first 2 shown]
	s_waitcnt lgkmcnt(7)
	global_store_short v[8:9], v3, off
	v_lshl_add_u64 v[2:3], v[6:7], 1, s[74:75]
	v_lshlrev_b32_e32 v6, 1, v39
	v_mov_b32_e32 v7, v1
	v_lshl_add_u64 v[2:3], v[2:3], 0, v[6:7]
	s_waitcnt lgkmcnt(6)
	global_store_short v[2:3], v5, off
	v_lshl_add_u64 v[2:3], v[12:13], 1, s[74:75]
	v_lshlrev_b32_e32 v6, 1, v40
	v_lshl_add_u64 v[2:3], v[2:3], 0, v[6:7]
	s_waitcnt lgkmcnt(5)
	global_store_short v[2:3], v11, off
	v_lshl_add_u64 v[2:3], v[14:15], 1, s[74:75]
	v_lshlrev_b32_e32 v6, 1, v50
	v_lshl_add_u64 v[2:3], v[2:3], 0, v[6:7]
	ds_read_b64 v[6:7], v60
	s_waitcnt lgkmcnt(5)
	global_store_short v[2:3], v16, off
	ds_read_b64 v[2:3], v61
	ds_read_b64 v[8:9], v62
	;; [unrolled: 1-line block ×3, first 2 shown]
	v_lshlrev_b32_e32 v14, 1, v59
	v_mov_b32_e32 v15, v1
	s_waitcnt lgkmcnt(3)
	v_lshl_add_u64 v[6:7], v[6:7], 1, s[74:75]
	v_lshl_add_u64 v[6:7], v[6:7], 0, v[14:15]
	global_store_short v[6:7], v17, off
	s_waitcnt lgkmcnt(2)
	v_lshl_add_u64 v[2:3], v[2:3], 1, s[74:75]
	v_lshlrev_b32_e32 v6, 1, v36
	v_mov_b32_e32 v7, v1
	v_lshl_add_u64 v[2:3], v[2:3], 0, v[6:7]
	global_store_short v[2:3], v18, off
	s_waitcnt lgkmcnt(1)
	v_lshl_add_u64 v[2:3], v[8:9], 1, s[74:75]
	v_lshlrev_b32_e32 v6, 1, v37
	v_lshl_add_u64 v[2:3], v[2:3], 0, v[6:7]
	global_store_short v[2:3], v19, off
	s_waitcnt lgkmcnt(0)
	v_lshl_add_u64 v[2:3], v[12:13], 1, s[74:75]
	v_lshlrev_b32_e32 v6, 1, v30
	v_lshl_add_u64 v[2:3], v[2:3], 0, v[6:7]
	global_store_short v[2:3], v20, off
	s_cbranch_scc1 .LBB24_247
; %bb.246:
	ds_read_b64 v[2:3], v10
	v_mov_b32_e32 v5, v1
	v_lshl_add_u64 v[0:1], v[4:5], 0, v[0:1]
	s_waitcnt lgkmcnt(0)
	v_lshl_add_u64 v[0:1], v[0:1], 0, v[2:3]
	global_store_dwordx2 v10, v[0:1], s[78:79]
.LBB24_247:
	s_endpgm
.LBB24_248:
	s_or_b64 exec, exec, s[4:5]
	s_and_saveexec_b64 s[4:5], s[36:37]
	s_cbranch_execz .LBB24_179
.LBB24_249:
	v_lshlrev_b32_e32 v7, 3, v41
	ds_read_b64 v[26:27], v7
	v_lshlrev_b32_e32 v28, 1, v2
	ds_read_u16 v7, v28 offset:2560
	v_mov_b32_e32 v29, 0
	s_waitcnt lgkmcnt(1)
	v_lshl_add_u64 v[26:27], v[26:27], 1, s[74:75]
	v_lshl_add_u64 v[26:27], v[26:27], 0, v[28:29]
	s_waitcnt lgkmcnt(0)
	global_store_short v[26:27], v7, off offset:512
	s_or_b64 exec, exec, s[4:5]
	s_and_saveexec_b64 s[4:5], s[38:39]
	s_cbranch_execnz .LBB24_180
.LBB24_250:
	s_or_b64 exec, exec, s[4:5]
	s_and_saveexec_b64 s[4:5], s[40:41]
	s_cbranch_execz .LBB24_181
.LBB24_251:
	v_lshlrev_b32_e32 v7, 3, v38
	ds_read_b64 v[26:27], v7
	v_lshlrev_b32_e32 v28, 1, v2
	ds_read_u16 v7, v28 offset:3584
	v_mov_b32_e32 v29, 0
	s_waitcnt lgkmcnt(1)
	v_lshl_add_u64 v[26:27], v[26:27], 1, s[74:75]
	v_lshl_add_u64 v[26:27], v[26:27], 0, v[28:29]
	s_waitcnt lgkmcnt(0)
	global_store_short v[26:27], v7, off offset:1536
	s_or_b64 exec, exec, s[4:5]
	s_and_saveexec_b64 s[4:5], s[42:43]
	s_cbranch_execnz .LBB24_182
.LBB24_252:
	s_or_b64 exec, exec, s[4:5]
	s_and_saveexec_b64 s[4:5], s[44:45]
	s_cbranch_execz .LBB24_183
.LBB24_253:
	v_lshlrev_b32_e32 v7, 3, v24
	ds_read_b64 v[24:25], v7
	v_lshlrev_b32_e32 v26, 1, v2
	ds_read_u16 v7, v26 offset:4608
	v_mov_b32_e32 v27, 0
	s_waitcnt lgkmcnt(1)
	v_lshl_add_u64 v[24:25], v[24:25], 1, s[74:75]
	v_lshl_add_u64 v[24:25], v[24:25], 0, v[26:27]
	s_waitcnt lgkmcnt(0)
	global_store_short v[24:25], v7, off offset:2560
	s_or_b64 exec, exec, s[4:5]
	s_and_saveexec_b64 s[4:5], s[46:47]
	s_cbranch_execnz .LBB24_184
.LBB24_254:
	s_or_b64 exec, exec, s[4:5]
	s_and_saveexec_b64 s[4:5], s[48:49]
	s_cbranch_execz .LBB24_185
.LBB24_255:
	v_lshlrev_b32_e32 v7, 3, v23
	ds_read_b64 v[24:25], v7
	v_lshlrev_b32_e32 v26, 1, v2
	ds_read_u16 v7, v26 offset:5632
	v_mov_b32_e32 v27, 0
	s_waitcnt lgkmcnt(1)
	v_lshl_add_u64 v[24:25], v[24:25], 1, s[74:75]
	v_lshl_add_u64 v[24:25], v[24:25], 0, v[26:27]
	s_waitcnt lgkmcnt(0)
	global_store_short v[24:25], v7, off offset:3584
	s_or_b64 exec, exec, s[4:5]
	s_and_saveexec_b64 s[4:5], s[50:51]
	s_cbranch_execnz .LBB24_186
.LBB24_256:
	s_or_b64 exec, exec, s[4:5]
	s_and_saveexec_b64 s[4:5], s[52:53]
	s_cbranch_execz .LBB24_187
.LBB24_257:
	v_lshlrev_b32_e32 v7, 3, v21
	ds_read_b64 v[24:25], v7
	v_lshlrev_b32_e32 v7, 1, v2
	ds_read_u16 v7, v7 offset:6656
	v_lshlrev_b32_e32 v26, 1, v12
	v_mov_b32_e32 v27, 0
	s_waitcnt lgkmcnt(1)
	v_lshl_add_u64 v[24:25], v[24:25], 1, s[74:75]
	v_lshl_add_u64 v[24:25], v[24:25], 0, v[26:27]
	s_waitcnt lgkmcnt(0)
	global_store_short v[24:25], v7, off
	s_or_b64 exec, exec, s[4:5]
	s_and_saveexec_b64 s[4:5], s[54:55]
	s_cbranch_execnz .LBB24_188
.LBB24_258:
	s_or_b64 exec, exec, s[4:5]
	s_and_saveexec_b64 s[4:5], s[56:57]
	s_cbranch_execz .LBB24_189
.LBB24_259:
	v_lshlrev_b32_e32 v7, 3, v14
	ds_read_b64 v[12:13], v7
	v_lshlrev_b32_e32 v7, 1, v2
	ds_read_u16 v7, v7 offset:7680
	v_lshlrev_b32_e32 v14, 1, v15
	v_mov_b32_e32 v15, 0
	s_waitcnt lgkmcnt(1)
	v_lshl_add_u64 v[12:13], v[12:13], 1, s[74:75]
	v_lshl_add_u64 v[12:13], v[12:13], 0, v[14:15]
	s_waitcnt lgkmcnt(0)
	global_store_short v[12:13], v7, off
	s_or_b64 exec, exec, s[4:5]
	s_and_saveexec_b64 s[4:5], s[58:59]
	s_cbranch_execnz .LBB24_190
.LBB24_260:
	s_or_b64 exec, exec, s[4:5]
	s_and_saveexec_b64 s[4:5], s[60:61]
	s_cbranch_execz .LBB24_191
.LBB24_261:
	v_lshlrev_b32_e32 v7, 3, v8
	ds_read_b64 v[12:13], v7
	v_lshlrev_b32_e32 v7, 1, v2
	ds_read_u16 v7, v7 offset:8704
	v_lshlrev_b32_e32 v14, 1, v17
	v_mov_b32_e32 v15, 0
	s_waitcnt lgkmcnt(1)
	v_lshl_add_u64 v[12:13], v[12:13], 1, s[74:75]
	v_lshl_add_u64 v[12:13], v[12:13], 0, v[14:15]
	s_waitcnt lgkmcnt(0)
	global_store_short v[12:13], v7, off
	s_or_b64 exec, exec, s[4:5]
	s_and_saveexec_b64 s[4:5], s[62:63]
	s_cbranch_execnz .LBB24_192
.LBB24_262:
	s_or_b64 exec, exec, s[4:5]
	s_and_saveexec_b64 s[4:5], s[64:65]
	s_cbranch_execz .LBB24_193
.LBB24_263:
	v_lshlrev_b32_e32 v3, 3, v3
	ds_read_b64 v[8:9], v3
	v_lshlrev_b32_e32 v2, 1, v2
	ds_read_u16 v7, v2 offset:9728
	v_lshlrev_b32_e32 v2, 1, v19
	v_mov_b32_e32 v3, 0
	s_waitcnt lgkmcnt(1)
	v_lshl_add_u64 v[8:9], v[8:9], 1, s[74:75]
	v_lshl_add_u64 v[2:3], v[8:9], 0, v[2:3]
	s_waitcnt lgkmcnt(0)
	global_store_short v[2:3], v7, off
	s_or_b64 exec, exec, s[4:5]
	s_add_i32 s33, s33, -1
	s_cmp_eq_u32 s2, s33
	s_cbranch_scc1 .LBB24_194
	s_branch .LBB24_195
	.section	.rodata,"a",@progbits
	.p2align	6, 0x0
	.amdhsa_kernel _ZN7rocprim17ROCPRIM_304000_NS6detail25onesweep_iteration_kernelINS1_34wrapped_radix_sort_onesweep_configINS0_14default_configEiN2at4cuda3cub6detail10OpaqueTypeILi2EEEEELb0EPKiPiPKSA_PSA_mNS0_19identity_decomposerEEEvT1_T2_T3_T4_jPT5_SO_PNS1_23onesweep_lookback_stateET6_jjj
		.amdhsa_group_segment_fixed_size 18432
		.amdhsa_private_segment_fixed_size 0
		.amdhsa_kernarg_size 336
		.amdhsa_user_sgpr_count 2
		.amdhsa_user_sgpr_dispatch_ptr 0
		.amdhsa_user_sgpr_queue_ptr 0
		.amdhsa_user_sgpr_kernarg_segment_ptr 1
		.amdhsa_user_sgpr_dispatch_id 0
		.amdhsa_user_sgpr_kernarg_preload_length 0
		.amdhsa_user_sgpr_kernarg_preload_offset 0
		.amdhsa_user_sgpr_private_segment_size 0
		.amdhsa_uses_dynamic_stack 0
		.amdhsa_enable_private_segment 0
		.amdhsa_system_sgpr_workgroup_id_x 1
		.amdhsa_system_sgpr_workgroup_id_y 0
		.amdhsa_system_sgpr_workgroup_id_z 0
		.amdhsa_system_sgpr_workgroup_info 0
		.amdhsa_system_vgpr_workitem_id 2
		.amdhsa_next_free_vgpr 79
		.amdhsa_next_free_sgpr 89
		.amdhsa_accum_offset 80
		.amdhsa_reserve_vcc 1
		.amdhsa_float_round_mode_32 0
		.amdhsa_float_round_mode_16_64 0
		.amdhsa_float_denorm_mode_32 3
		.amdhsa_float_denorm_mode_16_64 3
		.amdhsa_dx10_clamp 1
		.amdhsa_ieee_mode 1
		.amdhsa_fp16_overflow 0
		.amdhsa_tg_split 0
		.amdhsa_exception_fp_ieee_invalid_op 0
		.amdhsa_exception_fp_denorm_src 0
		.amdhsa_exception_fp_ieee_div_zero 0
		.amdhsa_exception_fp_ieee_overflow 0
		.amdhsa_exception_fp_ieee_underflow 0
		.amdhsa_exception_fp_ieee_inexact 0
		.amdhsa_exception_int_div_zero 0
	.end_amdhsa_kernel
	.section	.text._ZN7rocprim17ROCPRIM_304000_NS6detail25onesweep_iteration_kernelINS1_34wrapped_radix_sort_onesweep_configINS0_14default_configEiN2at4cuda3cub6detail10OpaqueTypeILi2EEEEELb0EPKiPiPKSA_PSA_mNS0_19identity_decomposerEEEvT1_T2_T3_T4_jPT5_SO_PNS1_23onesweep_lookback_stateET6_jjj,"axG",@progbits,_ZN7rocprim17ROCPRIM_304000_NS6detail25onesweep_iteration_kernelINS1_34wrapped_radix_sort_onesweep_configINS0_14default_configEiN2at4cuda3cub6detail10OpaqueTypeILi2EEEEELb0EPKiPiPKSA_PSA_mNS0_19identity_decomposerEEEvT1_T2_T3_T4_jPT5_SO_PNS1_23onesweep_lookback_stateET6_jjj,comdat
.Lfunc_end24:
	.size	_ZN7rocprim17ROCPRIM_304000_NS6detail25onesweep_iteration_kernelINS1_34wrapped_radix_sort_onesweep_configINS0_14default_configEiN2at4cuda3cub6detail10OpaqueTypeILi2EEEEELb0EPKiPiPKSA_PSA_mNS0_19identity_decomposerEEEvT1_T2_T3_T4_jPT5_SO_PNS1_23onesweep_lookback_stateET6_jjj, .Lfunc_end24-_ZN7rocprim17ROCPRIM_304000_NS6detail25onesweep_iteration_kernelINS1_34wrapped_radix_sort_onesweep_configINS0_14default_configEiN2at4cuda3cub6detail10OpaqueTypeILi2EEEEELb0EPKiPiPKSA_PSA_mNS0_19identity_decomposerEEEvT1_T2_T3_T4_jPT5_SO_PNS1_23onesweep_lookback_stateET6_jjj
                                        ; -- End function
	.set _ZN7rocprim17ROCPRIM_304000_NS6detail25onesweep_iteration_kernelINS1_34wrapped_radix_sort_onesweep_configINS0_14default_configEiN2at4cuda3cub6detail10OpaqueTypeILi2EEEEELb0EPKiPiPKSA_PSA_mNS0_19identity_decomposerEEEvT1_T2_T3_T4_jPT5_SO_PNS1_23onesweep_lookback_stateET6_jjj.num_vgpr, 79
	.set _ZN7rocprim17ROCPRIM_304000_NS6detail25onesweep_iteration_kernelINS1_34wrapped_radix_sort_onesweep_configINS0_14default_configEiN2at4cuda3cub6detail10OpaqueTypeILi2EEEEELb0EPKiPiPKSA_PSA_mNS0_19identity_decomposerEEEvT1_T2_T3_T4_jPT5_SO_PNS1_23onesweep_lookback_stateET6_jjj.num_agpr, 0
	.set _ZN7rocprim17ROCPRIM_304000_NS6detail25onesweep_iteration_kernelINS1_34wrapped_radix_sort_onesweep_configINS0_14default_configEiN2at4cuda3cub6detail10OpaqueTypeILi2EEEEELb0EPKiPiPKSA_PSA_mNS0_19identity_decomposerEEEvT1_T2_T3_T4_jPT5_SO_PNS1_23onesweep_lookback_stateET6_jjj.numbered_sgpr, 89
	.set _ZN7rocprim17ROCPRIM_304000_NS6detail25onesweep_iteration_kernelINS1_34wrapped_radix_sort_onesweep_configINS0_14default_configEiN2at4cuda3cub6detail10OpaqueTypeILi2EEEEELb0EPKiPiPKSA_PSA_mNS0_19identity_decomposerEEEvT1_T2_T3_T4_jPT5_SO_PNS1_23onesweep_lookback_stateET6_jjj.num_named_barrier, 0
	.set _ZN7rocprim17ROCPRIM_304000_NS6detail25onesweep_iteration_kernelINS1_34wrapped_radix_sort_onesweep_configINS0_14default_configEiN2at4cuda3cub6detail10OpaqueTypeILi2EEEEELb0EPKiPiPKSA_PSA_mNS0_19identity_decomposerEEEvT1_T2_T3_T4_jPT5_SO_PNS1_23onesweep_lookback_stateET6_jjj.private_seg_size, 0
	.set _ZN7rocprim17ROCPRIM_304000_NS6detail25onesweep_iteration_kernelINS1_34wrapped_radix_sort_onesweep_configINS0_14default_configEiN2at4cuda3cub6detail10OpaqueTypeILi2EEEEELb0EPKiPiPKSA_PSA_mNS0_19identity_decomposerEEEvT1_T2_T3_T4_jPT5_SO_PNS1_23onesweep_lookback_stateET6_jjj.uses_vcc, 1
	.set _ZN7rocprim17ROCPRIM_304000_NS6detail25onesweep_iteration_kernelINS1_34wrapped_radix_sort_onesweep_configINS0_14default_configEiN2at4cuda3cub6detail10OpaqueTypeILi2EEEEELb0EPKiPiPKSA_PSA_mNS0_19identity_decomposerEEEvT1_T2_T3_T4_jPT5_SO_PNS1_23onesweep_lookback_stateET6_jjj.uses_flat_scratch, 0
	.set _ZN7rocprim17ROCPRIM_304000_NS6detail25onesweep_iteration_kernelINS1_34wrapped_radix_sort_onesweep_configINS0_14default_configEiN2at4cuda3cub6detail10OpaqueTypeILi2EEEEELb0EPKiPiPKSA_PSA_mNS0_19identity_decomposerEEEvT1_T2_T3_T4_jPT5_SO_PNS1_23onesweep_lookback_stateET6_jjj.has_dyn_sized_stack, 0
	.set _ZN7rocprim17ROCPRIM_304000_NS6detail25onesweep_iteration_kernelINS1_34wrapped_radix_sort_onesweep_configINS0_14default_configEiN2at4cuda3cub6detail10OpaqueTypeILi2EEEEELb0EPKiPiPKSA_PSA_mNS0_19identity_decomposerEEEvT1_T2_T3_T4_jPT5_SO_PNS1_23onesweep_lookback_stateET6_jjj.has_recursion, 0
	.set _ZN7rocprim17ROCPRIM_304000_NS6detail25onesweep_iteration_kernelINS1_34wrapped_radix_sort_onesweep_configINS0_14default_configEiN2at4cuda3cub6detail10OpaqueTypeILi2EEEEELb0EPKiPiPKSA_PSA_mNS0_19identity_decomposerEEEvT1_T2_T3_T4_jPT5_SO_PNS1_23onesweep_lookback_stateET6_jjj.has_indirect_call, 0
	.section	.AMDGPU.csdata,"",@progbits
; Kernel info:
; codeLenInByte = 24668
; TotalNumSgprs: 95
; NumVgprs: 79
; NumAgprs: 0
; TotalNumVgprs: 79
; ScratchSize: 0
; MemoryBound: 0
; FloatMode: 240
; IeeeMode: 1
; LDSByteSize: 18432 bytes/workgroup (compile time only)
; SGPRBlocks: 11
; VGPRBlocks: 9
; NumSGPRsForWavesPerEU: 95
; NumVGPRsForWavesPerEU: 79
; AccumOffset: 80
; Occupancy: 6
; WaveLimiterHint : 1
; COMPUTE_PGM_RSRC2:SCRATCH_EN: 0
; COMPUTE_PGM_RSRC2:USER_SGPR: 2
; COMPUTE_PGM_RSRC2:TRAP_HANDLER: 0
; COMPUTE_PGM_RSRC2:TGID_X_EN: 1
; COMPUTE_PGM_RSRC2:TGID_Y_EN: 0
; COMPUTE_PGM_RSRC2:TGID_Z_EN: 0
; COMPUTE_PGM_RSRC2:TIDIG_COMP_CNT: 2
; COMPUTE_PGM_RSRC3_GFX90A:ACCUM_OFFSET: 19
; COMPUTE_PGM_RSRC3_GFX90A:TG_SPLIT: 0
	.section	.text._ZN7rocprim17ROCPRIM_304000_NS6detail25onesweep_iteration_kernelINS1_34wrapped_radix_sort_onesweep_configINS0_14default_configEiN2at4cuda3cub6detail10OpaqueTypeILi2EEEEELb0EPiSC_PSA_SD_mNS0_19identity_decomposerEEEvT1_T2_T3_T4_jPT5_SK_PNS1_23onesweep_lookback_stateET6_jjj,"axG",@progbits,_ZN7rocprim17ROCPRIM_304000_NS6detail25onesweep_iteration_kernelINS1_34wrapped_radix_sort_onesweep_configINS0_14default_configEiN2at4cuda3cub6detail10OpaqueTypeILi2EEEEELb0EPiSC_PSA_SD_mNS0_19identity_decomposerEEEvT1_T2_T3_T4_jPT5_SK_PNS1_23onesweep_lookback_stateET6_jjj,comdat
	.protected	_ZN7rocprim17ROCPRIM_304000_NS6detail25onesweep_iteration_kernelINS1_34wrapped_radix_sort_onesweep_configINS0_14default_configEiN2at4cuda3cub6detail10OpaqueTypeILi2EEEEELb0EPiSC_PSA_SD_mNS0_19identity_decomposerEEEvT1_T2_T3_T4_jPT5_SK_PNS1_23onesweep_lookback_stateET6_jjj ; -- Begin function _ZN7rocprim17ROCPRIM_304000_NS6detail25onesweep_iteration_kernelINS1_34wrapped_radix_sort_onesweep_configINS0_14default_configEiN2at4cuda3cub6detail10OpaqueTypeILi2EEEEELb0EPiSC_PSA_SD_mNS0_19identity_decomposerEEEvT1_T2_T3_T4_jPT5_SK_PNS1_23onesweep_lookback_stateET6_jjj
	.globl	_ZN7rocprim17ROCPRIM_304000_NS6detail25onesweep_iteration_kernelINS1_34wrapped_radix_sort_onesweep_configINS0_14default_configEiN2at4cuda3cub6detail10OpaqueTypeILi2EEEEELb0EPiSC_PSA_SD_mNS0_19identity_decomposerEEEvT1_T2_T3_T4_jPT5_SK_PNS1_23onesweep_lookback_stateET6_jjj
	.p2align	8
	.type	_ZN7rocprim17ROCPRIM_304000_NS6detail25onesweep_iteration_kernelINS1_34wrapped_radix_sort_onesweep_configINS0_14default_configEiN2at4cuda3cub6detail10OpaqueTypeILi2EEEEELb0EPiSC_PSA_SD_mNS0_19identity_decomposerEEEvT1_T2_T3_T4_jPT5_SK_PNS1_23onesweep_lookback_stateET6_jjj,@function
_ZN7rocprim17ROCPRIM_304000_NS6detail25onesweep_iteration_kernelINS1_34wrapped_radix_sort_onesweep_configINS0_14default_configEiN2at4cuda3cub6detail10OpaqueTypeILi2EEEEELb0EPiSC_PSA_SD_mNS0_19identity_decomposerEEEvT1_T2_T3_T4_jPT5_SK_PNS1_23onesweep_lookback_stateET6_jjj: ; @_ZN7rocprim17ROCPRIM_304000_NS6detail25onesweep_iteration_kernelINS1_34wrapped_radix_sort_onesweep_configINS0_14default_configEiN2at4cuda3cub6detail10OpaqueTypeILi2EEEEELb0EPiSC_PSA_SD_mNS0_19identity_decomposerEEEvT1_T2_T3_T4_jPT5_SK_PNS1_23onesweep_lookback_stateET6_jjj
; %bb.0:
	s_load_dwordx8 s[68:75], s[0:1], 0x0
	s_load_dwordx4 s[80:83], s[0:1], 0x44
	s_load_dwordx4 s[76:79], s[0:1], 0x28
	s_load_dwordx2 s[84:85], s[0:1], 0x38
	s_mov_b32 s3, s2
	s_mov_b64 s[4:5], -1
	s_waitcnt lgkmcnt(0)
	s_cmp_ge_u32 s2, s82
	v_mbcnt_lo_u32_b32 v1, -1, 0
	s_cbranch_scc0 .LBB25_196
; %bb.1:
	s_load_dword s4, s[0:1], 0x20
	s_lshl_b32 s5, s82, 12
	s_lshl_b32 s82, s2, 12
	s_mov_b32 s83, 0
	v_and_b32_e32 v2, 0x3ff, v0
	s_waitcnt lgkmcnt(0)
	s_sub_i32 s86, s4, s5
	s_lshl_b64 s[4:5], s[82:83], 2
	s_add_u32 s4, s68, s4
	v_mbcnt_hi_u32_b32 v14, -1, v1
	v_lshlrev_b32_e32 v3, 4, v2
	s_addc_u32 s5, s69, s5
	v_and_b32_e32 v3, 0xc00, v3
	v_mov_b32_e32 v5, 0
	v_lshlrev_b32_e32 v4, 2, v14
	v_lshl_add_u64 v[6:7], s[4:5], 0, v[4:5]
	v_lshlrev_b32_e32 v4, 2, v3
	v_lshl_add_u64 v[4:5], v[6:7], 0, v[4:5]
	v_or_b32_e32 v6, v14, v3
	v_mov_b32_e32 v8, -1
	v_cmp_gt_u32_e32 vcc, s86, v6
	v_mov_b32_e32 v9, -1
	s_and_saveexec_b64 s[4:5], vcc
	s_cbranch_execz .LBB25_3
; %bb.2:
	global_load_dword v7, v[4:5], off
	s_waitcnt vmcnt(0)
	v_xor_b32_e32 v9, 0x80000000, v7
.LBB25_3:
	s_or_b64 exec, exec, s[4:5]
	v_add_u32_e32 v7, 64, v6
	v_cmp_gt_u32_e64 s[66:67], s86, v7
	s_and_saveexec_b64 s[4:5], s[66:67]
	s_cbranch_execz .LBB25_5
; %bb.4:
	global_load_dword v7, v[4:5], off offset:256
	s_waitcnt vmcnt(0)
	v_xor_b32_e32 v8, 0x80000000, v7
.LBB25_5:
	s_or_b64 exec, exec, s[4:5]
	v_add_u32_e32 v7, 0x80, v6
	v_cmp_gt_u32_e64 s[4:5], s86, v7
	v_mov_b32_e32 v10, -1
	v_mov_b32_e32 v11, -1
	s_and_saveexec_b64 s[6:7], s[4:5]
	s_cbranch_execz .LBB25_7
; %bb.6:
	global_load_dword v7, v[4:5], off offset:512
	s_waitcnt vmcnt(0)
	v_xor_b32_e32 v11, 0x80000000, v7
.LBB25_7:
	s_or_b64 exec, exec, s[6:7]
	v_add_u32_e32 v7, 0xc0, v6
	v_cmp_gt_u32_e64 s[6:7], s86, v7
	s_and_saveexec_b64 s[8:9], s[6:7]
	s_cbranch_execz .LBB25_9
; %bb.8:
	global_load_dword v7, v[4:5], off offset:768
	s_waitcnt vmcnt(0)
	v_xor_b32_e32 v10, 0x80000000, v7
.LBB25_9:
	s_or_b64 exec, exec, s[8:9]
	v_add_u32_e32 v7, 0x100, v6
	v_cmp_gt_u32_e64 s[8:9], s86, v7
	v_mov_b32_e32 v12, -1
	v_mov_b32_e32 v13, -1
	s_and_saveexec_b64 s[10:11], s[8:9]
	s_cbranch_execz .LBB25_11
; %bb.10:
	global_load_dword v7, v[4:5], off offset:1024
	s_waitcnt vmcnt(0)
	v_xor_b32_e32 v13, 0x80000000, v7
.LBB25_11:
	;; [unrolled: 22-line block ×7, first 2 shown]
	s_or_b64 exec, exec, s[30:31]
	v_add_u32_e32 v6, 0x3c0, v6
	v_cmp_gt_u32_e64 s[30:31], s86, v6
	s_and_saveexec_b64 s[34:35], s[30:31]
	s_cbranch_execz .LBB25_33
; %bb.32:
	global_load_dword v4, v[4:5], off offset:3840
	s_waitcnt vmcnt(0)
	v_xor_b32_e32 v23, 0x80000000, v4
.LBB25_33:
	s_or_b64 exec, exec, s[34:35]
	s_load_dword s34, s[0:1], 0x5c
	s_load_dword s33, s[0:1], 0x50
	s_add_u32 s35, s0, 0x50
	s_addc_u32 s36, s1, 0
	v_mov_b32_e32 v5, 0
	s_waitcnt lgkmcnt(0)
	s_lshr_b32 s37, s34, 16
	s_cmp_lt_u32 s2, s33
	s_cselect_b32 s34, 12, 18
	s_add_u32 s34, s35, s34
	s_addc_u32 s35, s36, 0
	global_load_ushort v40, v5, s[34:35]
	v_lshrrev_b32_e32 v27, s80, v9
	s_lshl_b32 s34, -1, s81
	v_bfe_u32 v4, v0, 10, 10
	v_bfe_u32 v7, v0, 20, 10
	v_bitop3_b32 v37, v27, s34, v27 bitop3:0x30
	v_mad_u32_u24 v41, v7, s37, v4
	v_and_b32_e32 v4, 1, v37
	v_lshlrev_b32_e32 v7, 30, v37
	v_mov_b32_e32 v6, v5
	v_mov_b32_e32 v28, v5
	s_not_b32 s88, s34
	v_lshlrev_b32_e32 v27, 29, v37
	v_lshlrev_b32_e32 v29, 28, v37
	v_lshl_add_u64 v[38:39], v[4:5], 0, -1
	v_cmp_ne_u32_e64 s[34:35], 0, v4
	v_not_b32_e32 v4, v7
	v_mov_b32_e32 v26, v5
	v_mov_b32_e32 v30, v5
	v_lshlrev_b32_e32 v31, 27, v37
	v_cmp_gt_i64_e64 s[36:37], 0, v[6:7]
	v_not_b32_e32 v6, v27
	v_cmp_gt_i64_e64 s[40:41], 0, v[28:29]
	v_not_b32_e32 v7, v29
	v_xor_b32_e32 v29, s35, v39
	v_ashrrev_i32_e32 v4, 31, v4
	v_mov_b32_e32 v32, v5
	v_lshlrev_b32_e32 v33, 26, v37
	v_cmp_gt_i64_e64 s[38:39], 0, v[26:27]
	v_cmp_gt_i64_e64 s[42:43], 0, v[30:31]
	v_not_b32_e32 v26, v31
	v_xor_b32_e32 v30, s34, v38
	v_ashrrev_i32_e32 v6, 31, v6
	v_and_b32_e32 v29, exec_hi, v29
	v_xor_b32_e32 v31, s37, v4
	v_cmp_gt_i64_e64 s[44:45], 0, v[32:33]
	v_ashrrev_i32_e32 v7, 31, v7
	v_and_b32_e32 v30, exec_lo, v30
	v_xor_b32_e32 v4, s36, v4
	v_xor_b32_e32 v32, s39, v6
	v_and_b32_e32 v29, v29, v31
	v_mov_b32_e32 v34, v5
	v_lshlrev_b32_e32 v35, 25, v37
	v_not_b32_e32 v27, v33
	v_ashrrev_i32_e32 v26, 31, v26
	v_xor_b32_e32 v6, s38, v6
	v_xor_b32_e32 v33, s41, v7
	v_and_b32_e32 v4, v30, v4
	v_and_b32_e32 v29, v29, v32
	v_cmp_gt_i64_e64 s[46:47], 0, v[34:35]
	v_not_b32_e32 v28, v35
	v_ashrrev_i32_e32 v27, 31, v27
	v_xor_b32_e32 v34, s43, v26
	v_and_b32_e32 v4, v4, v6
	v_and_b32_e32 v6, v29, v33
	v_ashrrev_i32_e32 v28, 31, v28
	v_xor_b32_e32 v7, s40, v7
	v_xor_b32_e32 v35, s45, v27
	v_and_b32_e32 v6, v6, v34
	v_xor_b32_e32 v26, s42, v26
	v_xor_b32_e32 v38, s47, v28
	v_and_b32_e32 v4, v4, v7
	v_and_b32_e32 v6, v6, v35
	v_mul_lo_u32 v42, v37, 20
	v_lshlrev_b32_e32 v37, 24, v37
	v_and_b32_e32 v4, v4, v26
	v_and_b32_e32 v26, v6, v38
	v_mov_b32_e32 v36, v5
	v_xor_b32_e32 v27, s44, v27
	v_xor_b32_e32 v28, s46, v28
	v_and_b32_e32 v4, v4, v27
	v_and_b32_e32 v4, v4, v28
	v_mul_u32_u24_e32 v25, 20, v2
	ds_write2_b32 v25, v5, v5 offset0:4 offset1:5
	ds_write2_b32 v25, v5, v5 offset0:6 offset1:7
	ds_write_b32 v25, v5 offset:32
	s_waitcnt lgkmcnt(0)
	s_barrier
	s_waitcnt vmcnt(0)
	; wave barrier
	v_mad_u64_u32 v[6:7], s[34:35], v41, v40, v[2:3]
	v_lshrrev_b32_e32 v35, 6, v6
	v_not_b32_e32 v6, v37
	v_cmp_gt_i64_e64 s[34:35], 0, v[36:37]
	v_ashrrev_i32_e32 v6, 31, v6
	v_lshl_add_u32 v27, v35, 2, v42
	v_xor_b32_e32 v7, s35, v6
	v_xor_b32_e32 v6, s34, v6
	v_and_b32_e32 v6, v4, v6
	v_and_b32_e32 v7, v26, v7
	v_mbcnt_lo_u32_b32 v4, v6, 0
	v_mbcnt_hi_u32_b32 v26, v7, v4
	v_cmp_eq_u32_e64 s[34:35], 0, v26
	v_cmp_ne_u64_e64 s[36:37], 0, v[6:7]
	s_and_b64 s[36:37], s[36:37], s[34:35]
	s_and_saveexec_b64 s[34:35], s[36:37]
; %bb.34:
	v_bcnt_u32_b32 v4, v6, 0
	v_bcnt_u32_b32 v4, v7, v4
	ds_write_b32 v27, v4 offset:16
; %bb.35:
	s_or_b64 exec, exec, s[34:35]
	v_lshrrev_b32_e32 v4, s80, v8
	v_and_b32_e32 v30, s88, v4
	v_mul_lo_u32 v4, v30, 20
	v_lshl_add_u32 v29, v35, 2, v4
	v_and_b32_e32 v4, 1, v30
	v_lshl_add_u64 v[6:7], v[4:5], 0, -1
	v_cmp_ne_u32_e64 s[34:35], 0, v4
	; wave barrier
	s_nop 1
	v_xor_b32_e32 v6, s34, v6
	v_xor_b32_e32 v4, s35, v7
	v_and_b32_e32 v31, exec_lo, v6
	v_lshlrev_b32_e32 v7, 30, v30
	v_mov_b32_e32 v6, v5
	v_cmp_gt_i64_e64 s[34:35], 0, v[6:7]
	v_not_b32_e32 v6, v7
	v_ashrrev_i32_e32 v6, 31, v6
	v_and_b32_e32 v4, exec_hi, v4
	v_xor_b32_e32 v7, s35, v6
	v_xor_b32_e32 v6, s34, v6
	v_and_b32_e32 v4, v4, v7
	v_and_b32_e32 v31, v31, v6
	v_lshlrev_b32_e32 v7, 29, v30
	v_mov_b32_e32 v6, v5
	v_cmp_gt_i64_e64 s[34:35], 0, v[6:7]
	v_not_b32_e32 v6, v7
	v_ashrrev_i32_e32 v6, 31, v6
	v_xor_b32_e32 v7, s35, v6
	v_xor_b32_e32 v6, s34, v6
	v_and_b32_e32 v4, v4, v7
	v_and_b32_e32 v31, v31, v6
	v_lshlrev_b32_e32 v7, 28, v30
	v_mov_b32_e32 v6, v5
	v_cmp_gt_i64_e64 s[34:35], 0, v[6:7]
	v_not_b32_e32 v6, v7
	v_ashrrev_i32_e32 v6, 31, v6
	;; [unrolled: 9-line block ×5, first 2 shown]
	v_xor_b32_e32 v7, s35, v6
	v_xor_b32_e32 v6, s34, v6
	v_and_b32_e32 v4, v4, v7
	v_lshlrev_b32_e32 v7, 24, v30
	v_and_b32_e32 v31, v31, v6
	v_mov_b32_e32 v6, v5
	v_not_b32_e32 v5, v7
	v_cmp_gt_i64_e64 s[34:35], 0, v[6:7]
	v_ashrrev_i32_e32 v5, 31, v5
	ds_read_b32 v28, v29 offset:16
	v_xor_b32_e32 v6, s35, v5
	v_xor_b32_e32 v7, s34, v5
	v_and_b32_e32 v5, v4, v6
	v_and_b32_e32 v4, v31, v7
	v_mbcnt_lo_u32_b32 v6, v4, 0
	v_mbcnt_hi_u32_b32 v30, v5, v6
	v_cmp_eq_u32_e64 s[34:35], 0, v30
	v_cmp_ne_u64_e64 s[36:37], 0, v[4:5]
	s_and_b64 s[36:37], s[36:37], s[34:35]
	; wave barrier
	s_and_saveexec_b64 s[34:35], s[36:37]
	s_cbranch_execz .LBB25_37
; %bb.36:
	v_bcnt_u32_b32 v4, v4, 0
	v_bcnt_u32_b32 v4, v5, v4
	s_waitcnt lgkmcnt(0)
	v_add_u32_e32 v4, v28, v4
	ds_write_b32 v29, v4 offset:16
.LBB25_37:
	s_or_b64 exec, exec, s[34:35]
	v_lshrrev_b32_e32 v4, s80, v11
	v_and_b32_e32 v33, s88, v4
	v_mul_lo_u32 v4, v33, 20
	v_lshl_add_u32 v32, v35, 2, v4
	v_and_b32_e32 v4, 1, v33
	v_mov_b32_e32 v5, 0
	v_lshl_add_u64 v[6:7], v[4:5], 0, -1
	v_cmp_ne_u32_e64 s[34:35], 0, v4
	; wave barrier
	s_nop 1
	v_xor_b32_e32 v6, s34, v6
	v_xor_b32_e32 v4, s35, v7
	v_and_b32_e32 v34, exec_lo, v6
	v_lshlrev_b32_e32 v7, 30, v33
	v_mov_b32_e32 v6, v5
	v_cmp_gt_i64_e64 s[34:35], 0, v[6:7]
	v_not_b32_e32 v6, v7
	v_ashrrev_i32_e32 v6, 31, v6
	v_and_b32_e32 v4, exec_hi, v4
	v_xor_b32_e32 v7, s35, v6
	v_xor_b32_e32 v6, s34, v6
	v_and_b32_e32 v4, v4, v7
	v_and_b32_e32 v34, v34, v6
	v_lshlrev_b32_e32 v7, 29, v33
	v_mov_b32_e32 v6, v5
	v_cmp_gt_i64_e64 s[34:35], 0, v[6:7]
	v_not_b32_e32 v6, v7
	v_ashrrev_i32_e32 v6, 31, v6
	v_xor_b32_e32 v7, s35, v6
	v_xor_b32_e32 v6, s34, v6
	v_and_b32_e32 v4, v4, v7
	v_and_b32_e32 v34, v34, v6
	v_lshlrev_b32_e32 v7, 28, v33
	v_mov_b32_e32 v6, v5
	v_cmp_gt_i64_e64 s[34:35], 0, v[6:7]
	v_not_b32_e32 v6, v7
	v_ashrrev_i32_e32 v6, 31, v6
	;; [unrolled: 9-line block ×6, first 2 shown]
	v_xor_b32_e32 v7, s35, v6
	v_xor_b32_e32 v6, s34, v6
	ds_read_b32 v31, v32 offset:16
	v_and_b32_e32 v6, v34, v6
	v_and_b32_e32 v7, v4, v7
	v_mbcnt_lo_u32_b32 v4, v6, 0
	v_mbcnt_hi_u32_b32 v33, v7, v4
	v_cmp_eq_u32_e64 s[34:35], 0, v33
	v_cmp_ne_u64_e64 s[36:37], 0, v[6:7]
	s_and_b64 s[36:37], s[36:37], s[34:35]
	; wave barrier
	s_and_saveexec_b64 s[34:35], s[36:37]
	s_cbranch_execz .LBB25_39
; %bb.38:
	v_bcnt_u32_b32 v4, v6, 0
	v_bcnt_u32_b32 v4, v7, v4
	s_waitcnt lgkmcnt(0)
	v_add_u32_e32 v4, v31, v4
	ds_write_b32 v32, v4 offset:16
.LBB25_39:
	s_or_b64 exec, exec, s[34:35]
	v_lshrrev_b32_e32 v4, s80, v10
	v_and_b32_e32 v37, s88, v4
	v_mul_lo_u32 v4, v37, 20
	v_lshl_add_u32 v36, v35, 2, v4
	v_and_b32_e32 v4, 1, v37
	v_lshl_add_u64 v[6:7], v[4:5], 0, -1
	v_cmp_ne_u32_e64 s[34:35], 0, v4
	; wave barrier
	s_nop 1
	v_xor_b32_e32 v6, s34, v6
	v_xor_b32_e32 v4, s35, v7
	v_and_b32_e32 v38, exec_lo, v6
	v_lshlrev_b32_e32 v7, 30, v37
	v_mov_b32_e32 v6, v5
	v_cmp_gt_i64_e64 s[34:35], 0, v[6:7]
	v_not_b32_e32 v6, v7
	v_ashrrev_i32_e32 v6, 31, v6
	v_and_b32_e32 v4, exec_hi, v4
	v_xor_b32_e32 v7, s35, v6
	v_xor_b32_e32 v6, s34, v6
	v_and_b32_e32 v4, v4, v7
	v_and_b32_e32 v38, v38, v6
	v_lshlrev_b32_e32 v7, 29, v37
	v_mov_b32_e32 v6, v5
	v_cmp_gt_i64_e64 s[34:35], 0, v[6:7]
	v_not_b32_e32 v6, v7
	v_ashrrev_i32_e32 v6, 31, v6
	v_xor_b32_e32 v7, s35, v6
	v_xor_b32_e32 v6, s34, v6
	v_and_b32_e32 v4, v4, v7
	v_and_b32_e32 v38, v38, v6
	v_lshlrev_b32_e32 v7, 28, v37
	v_mov_b32_e32 v6, v5
	v_cmp_gt_i64_e64 s[34:35], 0, v[6:7]
	v_not_b32_e32 v6, v7
	v_ashrrev_i32_e32 v6, 31, v6
	;; [unrolled: 9-line block ×5, first 2 shown]
	v_xor_b32_e32 v7, s35, v6
	v_xor_b32_e32 v6, s34, v6
	v_and_b32_e32 v4, v4, v7
	v_lshlrev_b32_e32 v7, 24, v37
	v_and_b32_e32 v38, v38, v6
	v_mov_b32_e32 v6, v5
	v_not_b32_e32 v5, v7
	v_cmp_gt_i64_e64 s[34:35], 0, v[6:7]
	v_ashrrev_i32_e32 v5, 31, v5
	ds_read_b32 v34, v36 offset:16
	v_xor_b32_e32 v6, s35, v5
	v_xor_b32_e32 v7, s34, v5
	v_and_b32_e32 v5, v4, v6
	v_and_b32_e32 v4, v38, v7
	v_mbcnt_lo_u32_b32 v6, v4, 0
	v_mbcnt_hi_u32_b32 v37, v5, v6
	v_cmp_eq_u32_e64 s[34:35], 0, v37
	v_cmp_ne_u64_e64 s[36:37], 0, v[4:5]
	s_and_b64 s[36:37], s[36:37], s[34:35]
	; wave barrier
	s_and_saveexec_b64 s[34:35], s[36:37]
	s_cbranch_execz .LBB25_41
; %bb.40:
	v_bcnt_u32_b32 v4, v4, 0
	v_bcnt_u32_b32 v4, v5, v4
	s_waitcnt lgkmcnt(0)
	v_add_u32_e32 v4, v34, v4
	ds_write_b32 v36, v4 offset:16
.LBB25_41:
	s_or_b64 exec, exec, s[34:35]
	v_lshrrev_b32_e32 v4, s80, v13
	v_and_b32_e32 v40, s88, v4
	v_mul_lo_u32 v4, v40, 20
	v_lshl_add_u32 v39, v35, 2, v4
	v_and_b32_e32 v4, 1, v40
	v_mov_b32_e32 v5, 0
	v_lshl_add_u64 v[6:7], v[4:5], 0, -1
	v_cmp_ne_u32_e64 s[34:35], 0, v4
	; wave barrier
	s_nop 1
	v_xor_b32_e32 v6, s34, v6
	v_xor_b32_e32 v4, s35, v7
	v_and_b32_e32 v41, exec_lo, v6
	v_lshlrev_b32_e32 v7, 30, v40
	v_mov_b32_e32 v6, v5
	v_cmp_gt_i64_e64 s[34:35], 0, v[6:7]
	v_not_b32_e32 v6, v7
	v_ashrrev_i32_e32 v6, 31, v6
	v_and_b32_e32 v4, exec_hi, v4
	v_xor_b32_e32 v7, s35, v6
	v_xor_b32_e32 v6, s34, v6
	v_and_b32_e32 v4, v4, v7
	v_and_b32_e32 v41, v41, v6
	v_lshlrev_b32_e32 v7, 29, v40
	v_mov_b32_e32 v6, v5
	v_cmp_gt_i64_e64 s[34:35], 0, v[6:7]
	v_not_b32_e32 v6, v7
	v_ashrrev_i32_e32 v6, 31, v6
	v_xor_b32_e32 v7, s35, v6
	v_xor_b32_e32 v6, s34, v6
	v_and_b32_e32 v4, v4, v7
	v_and_b32_e32 v41, v41, v6
	v_lshlrev_b32_e32 v7, 28, v40
	v_mov_b32_e32 v6, v5
	v_cmp_gt_i64_e64 s[34:35], 0, v[6:7]
	v_not_b32_e32 v6, v7
	v_ashrrev_i32_e32 v6, 31, v6
	;; [unrolled: 9-line block ×6, first 2 shown]
	v_xor_b32_e32 v7, s35, v6
	v_xor_b32_e32 v6, s34, v6
	ds_read_b32 v38, v39 offset:16
	v_and_b32_e32 v6, v41, v6
	v_and_b32_e32 v7, v4, v7
	v_mbcnt_lo_u32_b32 v4, v6, 0
	v_mbcnt_hi_u32_b32 v40, v7, v4
	v_cmp_eq_u32_e64 s[34:35], 0, v40
	v_cmp_ne_u64_e64 s[36:37], 0, v[6:7]
	s_and_b64 s[36:37], s[36:37], s[34:35]
	; wave barrier
	s_and_saveexec_b64 s[34:35], s[36:37]
	s_cbranch_execz .LBB25_43
; %bb.42:
	v_bcnt_u32_b32 v4, v6, 0
	v_bcnt_u32_b32 v4, v7, v4
	s_waitcnt lgkmcnt(0)
	v_add_u32_e32 v4, v38, v4
	ds_write_b32 v39, v4 offset:16
.LBB25_43:
	s_or_b64 exec, exec, s[34:35]
	v_lshrrev_b32_e32 v4, s80, v12
	v_and_b32_e32 v43, s88, v4
	v_mul_lo_u32 v4, v43, 20
	v_lshl_add_u32 v42, v35, 2, v4
	v_and_b32_e32 v4, 1, v43
	v_lshl_add_u64 v[6:7], v[4:5], 0, -1
	v_cmp_ne_u32_e64 s[34:35], 0, v4
	; wave barrier
	s_nop 1
	v_xor_b32_e32 v6, s34, v6
	v_xor_b32_e32 v4, s35, v7
	v_and_b32_e32 v44, exec_lo, v6
	v_lshlrev_b32_e32 v7, 30, v43
	v_mov_b32_e32 v6, v5
	v_cmp_gt_i64_e64 s[34:35], 0, v[6:7]
	v_not_b32_e32 v6, v7
	v_ashrrev_i32_e32 v6, 31, v6
	v_and_b32_e32 v4, exec_hi, v4
	v_xor_b32_e32 v7, s35, v6
	v_xor_b32_e32 v6, s34, v6
	v_and_b32_e32 v4, v4, v7
	v_and_b32_e32 v44, v44, v6
	v_lshlrev_b32_e32 v7, 29, v43
	v_mov_b32_e32 v6, v5
	v_cmp_gt_i64_e64 s[34:35], 0, v[6:7]
	v_not_b32_e32 v6, v7
	v_ashrrev_i32_e32 v6, 31, v6
	v_xor_b32_e32 v7, s35, v6
	v_xor_b32_e32 v6, s34, v6
	v_and_b32_e32 v4, v4, v7
	v_and_b32_e32 v44, v44, v6
	v_lshlrev_b32_e32 v7, 28, v43
	v_mov_b32_e32 v6, v5
	v_cmp_gt_i64_e64 s[34:35], 0, v[6:7]
	v_not_b32_e32 v6, v7
	v_ashrrev_i32_e32 v6, 31, v6
	;; [unrolled: 9-line block ×5, first 2 shown]
	v_xor_b32_e32 v7, s35, v6
	v_xor_b32_e32 v6, s34, v6
	v_and_b32_e32 v4, v4, v7
	v_lshlrev_b32_e32 v7, 24, v43
	v_and_b32_e32 v44, v44, v6
	v_mov_b32_e32 v6, v5
	v_not_b32_e32 v5, v7
	v_cmp_gt_i64_e64 s[34:35], 0, v[6:7]
	v_ashrrev_i32_e32 v5, 31, v5
	ds_read_b32 v41, v42 offset:16
	v_xor_b32_e32 v6, s35, v5
	v_xor_b32_e32 v7, s34, v5
	v_and_b32_e32 v5, v4, v6
	v_and_b32_e32 v4, v44, v7
	v_mbcnt_lo_u32_b32 v6, v4, 0
	v_mbcnt_hi_u32_b32 v43, v5, v6
	v_cmp_eq_u32_e64 s[34:35], 0, v43
	v_cmp_ne_u64_e64 s[36:37], 0, v[4:5]
	s_and_b64 s[36:37], s[36:37], s[34:35]
	; wave barrier
	s_and_saveexec_b64 s[34:35], s[36:37]
	s_cbranch_execz .LBB25_45
; %bb.44:
	v_bcnt_u32_b32 v4, v4, 0
	v_bcnt_u32_b32 v4, v5, v4
	s_waitcnt lgkmcnt(0)
	v_add_u32_e32 v4, v41, v4
	ds_write_b32 v42, v4 offset:16
.LBB25_45:
	s_or_b64 exec, exec, s[34:35]
	v_lshrrev_b32_e32 v4, s80, v16
	v_and_b32_e32 v46, s88, v4
	v_mul_lo_u32 v4, v46, 20
	v_lshl_add_u32 v45, v35, 2, v4
	v_and_b32_e32 v4, 1, v46
	v_mov_b32_e32 v5, 0
	v_lshl_add_u64 v[6:7], v[4:5], 0, -1
	v_cmp_ne_u32_e64 s[34:35], 0, v4
	; wave barrier
	s_nop 1
	v_xor_b32_e32 v6, s34, v6
	v_xor_b32_e32 v4, s35, v7
	v_and_b32_e32 v47, exec_lo, v6
	v_lshlrev_b32_e32 v7, 30, v46
	v_mov_b32_e32 v6, v5
	v_cmp_gt_i64_e64 s[34:35], 0, v[6:7]
	v_not_b32_e32 v6, v7
	v_ashrrev_i32_e32 v6, 31, v6
	v_and_b32_e32 v4, exec_hi, v4
	v_xor_b32_e32 v7, s35, v6
	v_xor_b32_e32 v6, s34, v6
	v_and_b32_e32 v4, v4, v7
	v_and_b32_e32 v47, v47, v6
	v_lshlrev_b32_e32 v7, 29, v46
	v_mov_b32_e32 v6, v5
	v_cmp_gt_i64_e64 s[34:35], 0, v[6:7]
	v_not_b32_e32 v6, v7
	v_ashrrev_i32_e32 v6, 31, v6
	v_xor_b32_e32 v7, s35, v6
	v_xor_b32_e32 v6, s34, v6
	v_and_b32_e32 v4, v4, v7
	v_and_b32_e32 v47, v47, v6
	v_lshlrev_b32_e32 v7, 28, v46
	v_mov_b32_e32 v6, v5
	v_cmp_gt_i64_e64 s[34:35], 0, v[6:7]
	v_not_b32_e32 v6, v7
	v_ashrrev_i32_e32 v6, 31, v6
	v_xor_b32_e32 v7, s35, v6
	v_xor_b32_e32 v6, s34, v6
	v_and_b32_e32 v4, v4, v7
	v_and_b32_e32 v47, v47, v6
	v_lshlrev_b32_e32 v7, 27, v46
	v_mov_b32_e32 v6, v5
	v_cmp_gt_i64_e64 s[34:35], 0, v[6:7]
	v_not_b32_e32 v6, v7
	v_ashrrev_i32_e32 v6, 31, v6
	v_xor_b32_e32 v7, s35, v6
	v_xor_b32_e32 v6, s34, v6
	v_and_b32_e32 v4, v4, v7
	v_and_b32_e32 v47, v47, v6
	v_lshlrev_b32_e32 v7, 26, v46
	v_mov_b32_e32 v6, v5
	v_cmp_gt_i64_e64 s[34:35], 0, v[6:7]
	v_not_b32_e32 v6, v7
	v_ashrrev_i32_e32 v6, 31, v6
	v_xor_b32_e32 v7, s35, v6
	v_xor_b32_e32 v6, s34, v6
	v_and_b32_e32 v4, v4, v7
	v_and_b32_e32 v47, v47, v6
	v_lshlrev_b32_e32 v7, 25, v46
	v_mov_b32_e32 v6, v5
	v_cmp_gt_i64_e64 s[34:35], 0, v[6:7]
	v_not_b32_e32 v6, v7
	v_ashrrev_i32_e32 v6, 31, v6
	v_xor_b32_e32 v7, s35, v6
	v_xor_b32_e32 v6, s34, v6
	v_and_b32_e32 v4, v4, v7
	v_and_b32_e32 v47, v47, v6
	v_lshlrev_b32_e32 v7, 24, v46
	v_mov_b32_e32 v6, v5
	v_cmp_gt_i64_e64 s[34:35], 0, v[6:7]
	v_not_b32_e32 v6, v7
	v_ashrrev_i32_e32 v6, 31, v6
	v_xor_b32_e32 v7, s35, v6
	v_xor_b32_e32 v6, s34, v6
	ds_read_b32 v44, v45 offset:16
	v_and_b32_e32 v6, v47, v6
	v_and_b32_e32 v7, v4, v7
	v_mbcnt_lo_u32_b32 v4, v6, 0
	v_mbcnt_hi_u32_b32 v46, v7, v4
	v_cmp_eq_u32_e64 s[34:35], 0, v46
	v_cmp_ne_u64_e64 s[36:37], 0, v[6:7]
	s_and_b64 s[36:37], s[36:37], s[34:35]
	; wave barrier
	s_and_saveexec_b64 s[34:35], s[36:37]
	s_cbranch_execz .LBB25_47
; %bb.46:
	v_bcnt_u32_b32 v4, v6, 0
	v_bcnt_u32_b32 v4, v7, v4
	s_waitcnt lgkmcnt(0)
	v_add_u32_e32 v4, v44, v4
	ds_write_b32 v45, v4 offset:16
.LBB25_47:
	s_or_b64 exec, exec, s[34:35]
	v_lshrrev_b32_e32 v4, s80, v15
	v_and_b32_e32 v49, s88, v4
	v_mul_lo_u32 v4, v49, 20
	v_lshl_add_u32 v48, v35, 2, v4
	v_and_b32_e32 v4, 1, v49
	v_lshl_add_u64 v[6:7], v[4:5], 0, -1
	v_cmp_ne_u32_e64 s[34:35], 0, v4
	; wave barrier
	s_nop 1
	v_xor_b32_e32 v6, s34, v6
	v_xor_b32_e32 v4, s35, v7
	v_and_b32_e32 v50, exec_lo, v6
	v_lshlrev_b32_e32 v7, 30, v49
	v_mov_b32_e32 v6, v5
	v_cmp_gt_i64_e64 s[34:35], 0, v[6:7]
	v_not_b32_e32 v6, v7
	v_ashrrev_i32_e32 v6, 31, v6
	v_and_b32_e32 v4, exec_hi, v4
	v_xor_b32_e32 v7, s35, v6
	v_xor_b32_e32 v6, s34, v6
	v_and_b32_e32 v4, v4, v7
	v_and_b32_e32 v50, v50, v6
	v_lshlrev_b32_e32 v7, 29, v49
	v_mov_b32_e32 v6, v5
	v_cmp_gt_i64_e64 s[34:35], 0, v[6:7]
	v_not_b32_e32 v6, v7
	v_ashrrev_i32_e32 v6, 31, v6
	v_xor_b32_e32 v7, s35, v6
	v_xor_b32_e32 v6, s34, v6
	v_and_b32_e32 v4, v4, v7
	v_and_b32_e32 v50, v50, v6
	v_lshlrev_b32_e32 v7, 28, v49
	v_mov_b32_e32 v6, v5
	v_cmp_gt_i64_e64 s[34:35], 0, v[6:7]
	v_not_b32_e32 v6, v7
	v_ashrrev_i32_e32 v6, 31, v6
	v_xor_b32_e32 v7, s35, v6
	v_xor_b32_e32 v6, s34, v6
	v_and_b32_e32 v4, v4, v7
	v_and_b32_e32 v50, v50, v6
	v_lshlrev_b32_e32 v7, 27, v49
	v_mov_b32_e32 v6, v5
	v_cmp_gt_i64_e64 s[34:35], 0, v[6:7]
	v_not_b32_e32 v6, v7
	v_ashrrev_i32_e32 v6, 31, v6
	v_xor_b32_e32 v7, s35, v6
	v_xor_b32_e32 v6, s34, v6
	v_and_b32_e32 v4, v4, v7
	v_and_b32_e32 v50, v50, v6
	v_lshlrev_b32_e32 v7, 26, v49
	v_mov_b32_e32 v6, v5
	v_cmp_gt_i64_e64 s[34:35], 0, v[6:7]
	v_not_b32_e32 v6, v7
	v_ashrrev_i32_e32 v6, 31, v6
	v_xor_b32_e32 v7, s35, v6
	v_xor_b32_e32 v6, s34, v6
	v_and_b32_e32 v4, v4, v7
	v_and_b32_e32 v50, v50, v6
	v_lshlrev_b32_e32 v7, 25, v49
	v_mov_b32_e32 v6, v5
	v_cmp_gt_i64_e64 s[34:35], 0, v[6:7]
	v_not_b32_e32 v6, v7
	v_ashrrev_i32_e32 v6, 31, v6
	v_xor_b32_e32 v7, s35, v6
	v_xor_b32_e32 v6, s34, v6
	v_and_b32_e32 v4, v4, v7
	v_lshlrev_b32_e32 v7, 24, v49
	v_and_b32_e32 v50, v50, v6
	v_mov_b32_e32 v6, v5
	v_not_b32_e32 v5, v7
	v_cmp_gt_i64_e64 s[34:35], 0, v[6:7]
	v_ashrrev_i32_e32 v5, 31, v5
	ds_read_b32 v47, v48 offset:16
	v_xor_b32_e32 v6, s35, v5
	v_xor_b32_e32 v7, s34, v5
	v_and_b32_e32 v5, v4, v6
	v_and_b32_e32 v4, v50, v7
	v_mbcnt_lo_u32_b32 v6, v4, 0
	v_mbcnt_hi_u32_b32 v49, v5, v6
	v_cmp_eq_u32_e64 s[34:35], 0, v49
	v_cmp_ne_u64_e64 s[36:37], 0, v[4:5]
	s_and_b64 s[36:37], s[36:37], s[34:35]
	; wave barrier
	s_and_saveexec_b64 s[34:35], s[36:37]
	s_cbranch_execz .LBB25_49
; %bb.48:
	v_bcnt_u32_b32 v4, v4, 0
	v_bcnt_u32_b32 v4, v5, v4
	s_waitcnt lgkmcnt(0)
	v_add_u32_e32 v4, v47, v4
	ds_write_b32 v48, v4 offset:16
.LBB25_49:
	s_or_b64 exec, exec, s[34:35]
	v_lshrrev_b32_e32 v4, s80, v18
	v_and_b32_e32 v52, s88, v4
	v_mul_lo_u32 v4, v52, 20
	v_lshl_add_u32 v51, v35, 2, v4
	v_and_b32_e32 v4, 1, v52
	v_mov_b32_e32 v5, 0
	v_lshl_add_u64 v[6:7], v[4:5], 0, -1
	v_cmp_ne_u32_e64 s[34:35], 0, v4
	; wave barrier
	s_nop 1
	v_xor_b32_e32 v6, s34, v6
	v_xor_b32_e32 v4, s35, v7
	v_and_b32_e32 v53, exec_lo, v6
	v_lshlrev_b32_e32 v7, 30, v52
	v_mov_b32_e32 v6, v5
	v_cmp_gt_i64_e64 s[34:35], 0, v[6:7]
	v_not_b32_e32 v6, v7
	v_ashrrev_i32_e32 v6, 31, v6
	v_and_b32_e32 v4, exec_hi, v4
	v_xor_b32_e32 v7, s35, v6
	v_xor_b32_e32 v6, s34, v6
	v_and_b32_e32 v4, v4, v7
	v_and_b32_e32 v53, v53, v6
	v_lshlrev_b32_e32 v7, 29, v52
	v_mov_b32_e32 v6, v5
	v_cmp_gt_i64_e64 s[34:35], 0, v[6:7]
	v_not_b32_e32 v6, v7
	v_ashrrev_i32_e32 v6, 31, v6
	v_xor_b32_e32 v7, s35, v6
	v_xor_b32_e32 v6, s34, v6
	v_and_b32_e32 v4, v4, v7
	v_and_b32_e32 v53, v53, v6
	v_lshlrev_b32_e32 v7, 28, v52
	v_mov_b32_e32 v6, v5
	v_cmp_gt_i64_e64 s[34:35], 0, v[6:7]
	v_not_b32_e32 v6, v7
	v_ashrrev_i32_e32 v6, 31, v6
	;; [unrolled: 9-line block ×6, first 2 shown]
	v_xor_b32_e32 v7, s35, v6
	v_xor_b32_e32 v6, s34, v6
	ds_read_b32 v50, v51 offset:16
	v_and_b32_e32 v6, v53, v6
	v_and_b32_e32 v7, v4, v7
	v_mbcnt_lo_u32_b32 v4, v6, 0
	v_mbcnt_hi_u32_b32 v52, v7, v4
	v_cmp_eq_u32_e64 s[34:35], 0, v52
	v_cmp_ne_u64_e64 s[36:37], 0, v[6:7]
	s_and_b64 s[36:37], s[36:37], s[34:35]
	; wave barrier
	s_and_saveexec_b64 s[34:35], s[36:37]
	s_cbranch_execz .LBB25_51
; %bb.50:
	v_bcnt_u32_b32 v4, v6, 0
	v_bcnt_u32_b32 v4, v7, v4
	s_waitcnt lgkmcnt(0)
	v_add_u32_e32 v4, v50, v4
	ds_write_b32 v51, v4 offset:16
.LBB25_51:
	s_or_b64 exec, exec, s[34:35]
	v_lshrrev_b32_e32 v4, s80, v17
	v_and_b32_e32 v55, s88, v4
	v_mul_lo_u32 v4, v55, 20
	v_lshl_add_u32 v54, v35, 2, v4
	v_and_b32_e32 v4, 1, v55
	v_lshl_add_u64 v[6:7], v[4:5], 0, -1
	v_cmp_ne_u32_e64 s[34:35], 0, v4
	; wave barrier
	s_nop 1
	v_xor_b32_e32 v6, s34, v6
	v_xor_b32_e32 v4, s35, v7
	v_and_b32_e32 v56, exec_lo, v6
	v_lshlrev_b32_e32 v7, 30, v55
	v_mov_b32_e32 v6, v5
	v_cmp_gt_i64_e64 s[34:35], 0, v[6:7]
	v_not_b32_e32 v6, v7
	v_ashrrev_i32_e32 v6, 31, v6
	v_and_b32_e32 v4, exec_hi, v4
	v_xor_b32_e32 v7, s35, v6
	v_xor_b32_e32 v6, s34, v6
	v_and_b32_e32 v4, v4, v7
	v_and_b32_e32 v56, v56, v6
	v_lshlrev_b32_e32 v7, 29, v55
	v_mov_b32_e32 v6, v5
	v_cmp_gt_i64_e64 s[34:35], 0, v[6:7]
	v_not_b32_e32 v6, v7
	v_ashrrev_i32_e32 v6, 31, v6
	v_xor_b32_e32 v7, s35, v6
	v_xor_b32_e32 v6, s34, v6
	v_and_b32_e32 v4, v4, v7
	v_and_b32_e32 v56, v56, v6
	v_lshlrev_b32_e32 v7, 28, v55
	v_mov_b32_e32 v6, v5
	v_cmp_gt_i64_e64 s[34:35], 0, v[6:7]
	v_not_b32_e32 v6, v7
	v_ashrrev_i32_e32 v6, 31, v6
	;; [unrolled: 9-line block ×5, first 2 shown]
	v_xor_b32_e32 v7, s35, v6
	v_xor_b32_e32 v6, s34, v6
	v_and_b32_e32 v4, v4, v7
	v_lshlrev_b32_e32 v7, 24, v55
	v_and_b32_e32 v56, v56, v6
	v_mov_b32_e32 v6, v5
	v_not_b32_e32 v5, v7
	v_cmp_gt_i64_e64 s[34:35], 0, v[6:7]
	v_ashrrev_i32_e32 v5, 31, v5
	ds_read_b32 v53, v54 offset:16
	v_xor_b32_e32 v6, s35, v5
	v_xor_b32_e32 v7, s34, v5
	v_and_b32_e32 v5, v4, v6
	v_and_b32_e32 v4, v56, v7
	v_mbcnt_lo_u32_b32 v6, v4, 0
	v_mbcnt_hi_u32_b32 v55, v5, v6
	v_cmp_eq_u32_e64 s[34:35], 0, v55
	v_cmp_ne_u64_e64 s[36:37], 0, v[4:5]
	s_and_b64 s[36:37], s[36:37], s[34:35]
	; wave barrier
	s_and_saveexec_b64 s[34:35], s[36:37]
	s_cbranch_execz .LBB25_53
; %bb.52:
	v_bcnt_u32_b32 v4, v4, 0
	v_bcnt_u32_b32 v4, v5, v4
	s_waitcnt lgkmcnt(0)
	v_add_u32_e32 v4, v53, v4
	ds_write_b32 v54, v4 offset:16
.LBB25_53:
	s_or_b64 exec, exec, s[34:35]
	v_lshrrev_b32_e32 v4, s80, v20
	v_and_b32_e32 v58, s88, v4
	v_mul_lo_u32 v4, v58, 20
	v_lshl_add_u32 v57, v35, 2, v4
	v_and_b32_e32 v4, 1, v58
	v_mov_b32_e32 v5, 0
	v_lshl_add_u64 v[6:7], v[4:5], 0, -1
	v_cmp_ne_u32_e64 s[34:35], 0, v4
	; wave barrier
	s_nop 1
	v_xor_b32_e32 v6, s34, v6
	v_xor_b32_e32 v4, s35, v7
	v_and_b32_e32 v59, exec_lo, v6
	v_lshlrev_b32_e32 v7, 30, v58
	v_mov_b32_e32 v6, v5
	v_cmp_gt_i64_e64 s[34:35], 0, v[6:7]
	v_not_b32_e32 v6, v7
	v_ashrrev_i32_e32 v6, 31, v6
	v_and_b32_e32 v4, exec_hi, v4
	v_xor_b32_e32 v7, s35, v6
	v_xor_b32_e32 v6, s34, v6
	v_and_b32_e32 v4, v4, v7
	v_and_b32_e32 v59, v59, v6
	v_lshlrev_b32_e32 v7, 29, v58
	v_mov_b32_e32 v6, v5
	v_cmp_gt_i64_e64 s[34:35], 0, v[6:7]
	v_not_b32_e32 v6, v7
	v_ashrrev_i32_e32 v6, 31, v6
	v_xor_b32_e32 v7, s35, v6
	v_xor_b32_e32 v6, s34, v6
	v_and_b32_e32 v4, v4, v7
	v_and_b32_e32 v59, v59, v6
	v_lshlrev_b32_e32 v7, 28, v58
	v_mov_b32_e32 v6, v5
	v_cmp_gt_i64_e64 s[34:35], 0, v[6:7]
	v_not_b32_e32 v6, v7
	v_ashrrev_i32_e32 v6, 31, v6
	;; [unrolled: 9-line block ×6, first 2 shown]
	v_xor_b32_e32 v7, s35, v6
	v_xor_b32_e32 v6, s34, v6
	ds_read_b32 v56, v57 offset:16
	v_and_b32_e32 v6, v59, v6
	v_and_b32_e32 v7, v4, v7
	v_mbcnt_lo_u32_b32 v4, v6, 0
	v_mbcnt_hi_u32_b32 v58, v7, v4
	v_cmp_eq_u32_e64 s[34:35], 0, v58
	v_cmp_ne_u64_e64 s[36:37], 0, v[6:7]
	s_and_b64 s[36:37], s[36:37], s[34:35]
	; wave barrier
	s_and_saveexec_b64 s[34:35], s[36:37]
	s_cbranch_execz .LBB25_55
; %bb.54:
	v_bcnt_u32_b32 v4, v6, 0
	v_bcnt_u32_b32 v4, v7, v4
	s_waitcnt lgkmcnt(0)
	v_add_u32_e32 v4, v56, v4
	ds_write_b32 v57, v4 offset:16
.LBB25_55:
	s_or_b64 exec, exec, s[34:35]
	v_lshrrev_b32_e32 v4, s80, v19
	v_and_b32_e32 v61, s88, v4
	v_mul_lo_u32 v4, v61, 20
	v_lshl_add_u32 v60, v35, 2, v4
	v_and_b32_e32 v4, 1, v61
	v_lshl_add_u64 v[6:7], v[4:5], 0, -1
	v_cmp_ne_u32_e64 s[34:35], 0, v4
	; wave barrier
	s_nop 1
	v_xor_b32_e32 v6, s34, v6
	v_xor_b32_e32 v4, s35, v7
	v_and_b32_e32 v62, exec_lo, v6
	v_lshlrev_b32_e32 v7, 30, v61
	v_mov_b32_e32 v6, v5
	v_cmp_gt_i64_e64 s[34:35], 0, v[6:7]
	v_not_b32_e32 v6, v7
	v_ashrrev_i32_e32 v6, 31, v6
	v_and_b32_e32 v4, exec_hi, v4
	v_xor_b32_e32 v7, s35, v6
	v_xor_b32_e32 v6, s34, v6
	v_and_b32_e32 v4, v4, v7
	v_and_b32_e32 v62, v62, v6
	v_lshlrev_b32_e32 v7, 29, v61
	v_mov_b32_e32 v6, v5
	v_cmp_gt_i64_e64 s[34:35], 0, v[6:7]
	v_not_b32_e32 v6, v7
	v_ashrrev_i32_e32 v6, 31, v6
	v_xor_b32_e32 v7, s35, v6
	v_xor_b32_e32 v6, s34, v6
	v_and_b32_e32 v4, v4, v7
	v_and_b32_e32 v62, v62, v6
	v_lshlrev_b32_e32 v7, 28, v61
	v_mov_b32_e32 v6, v5
	v_cmp_gt_i64_e64 s[34:35], 0, v[6:7]
	v_not_b32_e32 v6, v7
	v_ashrrev_i32_e32 v6, 31, v6
	;; [unrolled: 9-line block ×5, first 2 shown]
	v_xor_b32_e32 v7, s35, v6
	v_xor_b32_e32 v6, s34, v6
	v_and_b32_e32 v4, v4, v7
	v_lshlrev_b32_e32 v7, 24, v61
	v_and_b32_e32 v62, v62, v6
	v_mov_b32_e32 v6, v5
	v_not_b32_e32 v5, v7
	v_cmp_gt_i64_e64 s[34:35], 0, v[6:7]
	v_ashrrev_i32_e32 v5, 31, v5
	ds_read_b32 v59, v60 offset:16
	v_xor_b32_e32 v6, s35, v5
	v_xor_b32_e32 v7, s34, v5
	v_and_b32_e32 v5, v4, v6
	v_and_b32_e32 v4, v62, v7
	v_mbcnt_lo_u32_b32 v6, v4, 0
	v_mbcnt_hi_u32_b32 v61, v5, v6
	v_cmp_eq_u32_e64 s[34:35], 0, v61
	v_cmp_ne_u64_e64 s[36:37], 0, v[4:5]
	s_and_b64 s[36:37], s[36:37], s[34:35]
	; wave barrier
	s_and_saveexec_b64 s[34:35], s[36:37]
	s_cbranch_execz .LBB25_57
; %bb.56:
	v_bcnt_u32_b32 v4, v4, 0
	v_bcnt_u32_b32 v4, v5, v4
	s_waitcnt lgkmcnt(0)
	v_add_u32_e32 v4, v59, v4
	ds_write_b32 v60, v4 offset:16
.LBB25_57:
	s_or_b64 exec, exec, s[34:35]
	v_lshrrev_b32_e32 v4, s80, v22
	v_and_b32_e32 v64, s88, v4
	v_mul_lo_u32 v4, v64, 20
	v_lshl_add_u32 v63, v35, 2, v4
	v_and_b32_e32 v4, 1, v64
	v_mov_b32_e32 v5, 0
	v_lshl_add_u64 v[6:7], v[4:5], 0, -1
	v_cmp_ne_u32_e64 s[34:35], 0, v4
	; wave barrier
	s_nop 1
	v_xor_b32_e32 v6, s34, v6
	v_xor_b32_e32 v4, s35, v7
	v_and_b32_e32 v65, exec_lo, v6
	v_lshlrev_b32_e32 v7, 30, v64
	v_mov_b32_e32 v6, v5
	v_cmp_gt_i64_e64 s[34:35], 0, v[6:7]
	v_not_b32_e32 v6, v7
	v_ashrrev_i32_e32 v6, 31, v6
	v_and_b32_e32 v4, exec_hi, v4
	v_xor_b32_e32 v7, s35, v6
	v_xor_b32_e32 v6, s34, v6
	v_and_b32_e32 v4, v4, v7
	v_and_b32_e32 v65, v65, v6
	v_lshlrev_b32_e32 v7, 29, v64
	v_mov_b32_e32 v6, v5
	v_cmp_gt_i64_e64 s[34:35], 0, v[6:7]
	v_not_b32_e32 v6, v7
	v_ashrrev_i32_e32 v6, 31, v6
	v_xor_b32_e32 v7, s35, v6
	v_xor_b32_e32 v6, s34, v6
	v_and_b32_e32 v4, v4, v7
	v_and_b32_e32 v65, v65, v6
	v_lshlrev_b32_e32 v7, 28, v64
	v_mov_b32_e32 v6, v5
	v_cmp_gt_i64_e64 s[34:35], 0, v[6:7]
	v_not_b32_e32 v6, v7
	v_ashrrev_i32_e32 v6, 31, v6
	;; [unrolled: 9-line block ×6, first 2 shown]
	v_xor_b32_e32 v7, s35, v6
	v_xor_b32_e32 v6, s34, v6
	ds_read_b32 v62, v63 offset:16
	v_and_b32_e32 v6, v65, v6
	v_and_b32_e32 v7, v4, v7
	v_mbcnt_lo_u32_b32 v4, v6, 0
	v_mbcnt_hi_u32_b32 v64, v7, v4
	v_cmp_eq_u32_e64 s[34:35], 0, v64
	v_cmp_ne_u64_e64 s[36:37], 0, v[6:7]
	s_and_b64 s[36:37], s[36:37], s[34:35]
	; wave barrier
	s_and_saveexec_b64 s[34:35], s[36:37]
	s_cbranch_execz .LBB25_59
; %bb.58:
	v_bcnt_u32_b32 v4, v6, 0
	v_bcnt_u32_b32 v4, v7, v4
	s_waitcnt lgkmcnt(0)
	v_add_u32_e32 v4, v62, v4
	ds_write_b32 v63, v4 offset:16
.LBB25_59:
	s_or_b64 exec, exec, s[34:35]
	v_lshrrev_b32_e32 v4, s80, v21
	v_and_b32_e32 v67, s88, v4
	v_mul_lo_u32 v4, v67, 20
	v_lshl_add_u32 v66, v35, 2, v4
	v_and_b32_e32 v4, 1, v67
	v_lshl_add_u64 v[6:7], v[4:5], 0, -1
	v_cmp_ne_u32_e64 s[34:35], 0, v4
	; wave barrier
	s_nop 1
	v_xor_b32_e32 v6, s34, v6
	v_xor_b32_e32 v4, s35, v7
	v_and_b32_e32 v68, exec_lo, v6
	v_lshlrev_b32_e32 v7, 30, v67
	v_mov_b32_e32 v6, v5
	v_cmp_gt_i64_e64 s[34:35], 0, v[6:7]
	v_not_b32_e32 v6, v7
	v_ashrrev_i32_e32 v6, 31, v6
	v_and_b32_e32 v4, exec_hi, v4
	v_xor_b32_e32 v7, s35, v6
	v_xor_b32_e32 v6, s34, v6
	v_and_b32_e32 v4, v4, v7
	v_and_b32_e32 v68, v68, v6
	v_lshlrev_b32_e32 v7, 29, v67
	v_mov_b32_e32 v6, v5
	v_cmp_gt_i64_e64 s[34:35], 0, v[6:7]
	v_not_b32_e32 v6, v7
	v_ashrrev_i32_e32 v6, 31, v6
	v_xor_b32_e32 v7, s35, v6
	v_xor_b32_e32 v6, s34, v6
	v_and_b32_e32 v4, v4, v7
	v_and_b32_e32 v68, v68, v6
	v_lshlrev_b32_e32 v7, 28, v67
	v_mov_b32_e32 v6, v5
	v_cmp_gt_i64_e64 s[34:35], 0, v[6:7]
	v_not_b32_e32 v6, v7
	v_ashrrev_i32_e32 v6, 31, v6
	v_xor_b32_e32 v7, s35, v6
	v_xor_b32_e32 v6, s34, v6
	v_and_b32_e32 v4, v4, v7
	v_and_b32_e32 v68, v68, v6
	v_lshlrev_b32_e32 v7, 27, v67
	v_mov_b32_e32 v6, v5
	v_cmp_gt_i64_e64 s[34:35], 0, v[6:7]
	v_not_b32_e32 v6, v7
	v_ashrrev_i32_e32 v6, 31, v6
	v_xor_b32_e32 v7, s35, v6
	v_xor_b32_e32 v6, s34, v6
	v_and_b32_e32 v4, v4, v7
	v_and_b32_e32 v68, v68, v6
	v_lshlrev_b32_e32 v7, 26, v67
	v_mov_b32_e32 v6, v5
	v_cmp_gt_i64_e64 s[34:35], 0, v[6:7]
	v_not_b32_e32 v6, v7
	v_ashrrev_i32_e32 v6, 31, v6
	v_xor_b32_e32 v7, s35, v6
	v_xor_b32_e32 v6, s34, v6
	v_and_b32_e32 v4, v4, v7
	v_and_b32_e32 v68, v68, v6
	v_lshlrev_b32_e32 v7, 25, v67
	v_mov_b32_e32 v6, v5
	v_cmp_gt_i64_e64 s[34:35], 0, v[6:7]
	v_not_b32_e32 v6, v7
	v_ashrrev_i32_e32 v6, 31, v6
	v_xor_b32_e32 v7, s35, v6
	v_xor_b32_e32 v6, s34, v6
	v_and_b32_e32 v4, v4, v7
	v_lshlrev_b32_e32 v7, 24, v67
	v_and_b32_e32 v68, v68, v6
	v_mov_b32_e32 v6, v5
	v_not_b32_e32 v5, v7
	v_cmp_gt_i64_e64 s[34:35], 0, v[6:7]
	v_ashrrev_i32_e32 v5, 31, v5
	ds_read_b32 v65, v66 offset:16
	v_xor_b32_e32 v6, s35, v5
	v_xor_b32_e32 v7, s34, v5
	v_and_b32_e32 v5, v4, v6
	v_and_b32_e32 v4, v68, v7
	v_mbcnt_lo_u32_b32 v6, v4, 0
	v_mbcnt_hi_u32_b32 v67, v5, v6
	v_cmp_eq_u32_e64 s[34:35], 0, v67
	v_cmp_ne_u64_e64 s[36:37], 0, v[4:5]
	s_and_b64 s[36:37], s[36:37], s[34:35]
	; wave barrier
	s_and_saveexec_b64 s[34:35], s[36:37]
	s_cbranch_execz .LBB25_61
; %bb.60:
	v_bcnt_u32_b32 v4, v4, 0
	v_bcnt_u32_b32 v4, v5, v4
	s_waitcnt lgkmcnt(0)
	v_add_u32_e32 v4, v65, v4
	ds_write_b32 v66, v4 offset:16
.LBB25_61:
	s_or_b64 exec, exec, s[34:35]
	v_lshrrev_b32_e32 v4, s80, v24
	v_and_b32_e32 v70, s88, v4
	v_mul_lo_u32 v4, v70, 20
	v_lshl_add_u32 v69, v35, 2, v4
	v_and_b32_e32 v4, 1, v70
	v_mov_b32_e32 v5, 0
	v_lshl_add_u64 v[6:7], v[4:5], 0, -1
	v_cmp_ne_u32_e64 s[34:35], 0, v4
	; wave barrier
	s_nop 1
	v_xor_b32_e32 v6, s34, v6
	v_xor_b32_e32 v4, s35, v7
	v_and_b32_e32 v71, exec_lo, v6
	v_lshlrev_b32_e32 v7, 30, v70
	v_mov_b32_e32 v6, v5
	v_cmp_gt_i64_e64 s[34:35], 0, v[6:7]
	v_not_b32_e32 v6, v7
	v_ashrrev_i32_e32 v6, 31, v6
	v_and_b32_e32 v4, exec_hi, v4
	v_xor_b32_e32 v7, s35, v6
	v_xor_b32_e32 v6, s34, v6
	v_and_b32_e32 v4, v4, v7
	v_and_b32_e32 v71, v71, v6
	v_lshlrev_b32_e32 v7, 29, v70
	v_mov_b32_e32 v6, v5
	v_cmp_gt_i64_e64 s[34:35], 0, v[6:7]
	v_not_b32_e32 v6, v7
	v_ashrrev_i32_e32 v6, 31, v6
	v_xor_b32_e32 v7, s35, v6
	v_xor_b32_e32 v6, s34, v6
	v_and_b32_e32 v4, v4, v7
	v_and_b32_e32 v71, v71, v6
	v_lshlrev_b32_e32 v7, 28, v70
	v_mov_b32_e32 v6, v5
	v_cmp_gt_i64_e64 s[34:35], 0, v[6:7]
	v_not_b32_e32 v6, v7
	v_ashrrev_i32_e32 v6, 31, v6
	;; [unrolled: 9-line block ×6, first 2 shown]
	v_xor_b32_e32 v7, s35, v6
	v_xor_b32_e32 v6, s34, v6
	ds_read_b32 v68, v69 offset:16
	v_and_b32_e32 v6, v71, v6
	v_and_b32_e32 v7, v4, v7
	v_mbcnt_lo_u32_b32 v4, v6, 0
	v_mbcnt_hi_u32_b32 v70, v7, v4
	v_cmp_eq_u32_e64 s[34:35], 0, v70
	v_cmp_ne_u64_e64 s[36:37], 0, v[6:7]
	s_and_b64 s[36:37], s[36:37], s[34:35]
	; wave barrier
	s_and_saveexec_b64 s[34:35], s[36:37]
	s_cbranch_execz .LBB25_63
; %bb.62:
	v_bcnt_u32_b32 v4, v6, 0
	v_bcnt_u32_b32 v4, v7, v4
	s_waitcnt lgkmcnt(0)
	v_add_u32_e32 v4, v68, v4
	ds_write_b32 v69, v4 offset:16
.LBB25_63:
	s_or_b64 exec, exec, s[34:35]
	v_lshrrev_b32_e32 v4, s80, v23
	v_and_b32_e32 v72, s88, v4
	v_mul_lo_u32 v4, v72, 20
	v_lshl_add_u32 v35, v35, 2, v4
	v_and_b32_e32 v4, 1, v72
	v_lshl_add_u64 v[6:7], v[4:5], 0, -1
	v_cmp_ne_u32_e64 s[34:35], 0, v4
	; wave barrier
	s_nop 1
	v_xor_b32_e32 v6, s34, v6
	v_xor_b32_e32 v4, s35, v7
	v_and_b32_e32 v73, exec_lo, v6
	v_lshlrev_b32_e32 v7, 30, v72
	v_mov_b32_e32 v6, v5
	v_cmp_gt_i64_e64 s[34:35], 0, v[6:7]
	v_not_b32_e32 v6, v7
	v_ashrrev_i32_e32 v6, 31, v6
	v_and_b32_e32 v4, exec_hi, v4
	v_xor_b32_e32 v7, s35, v6
	v_xor_b32_e32 v6, s34, v6
	v_and_b32_e32 v4, v4, v7
	v_and_b32_e32 v73, v73, v6
	v_lshlrev_b32_e32 v7, 29, v72
	v_mov_b32_e32 v6, v5
	v_cmp_gt_i64_e64 s[34:35], 0, v[6:7]
	v_not_b32_e32 v6, v7
	v_ashrrev_i32_e32 v6, 31, v6
	v_xor_b32_e32 v7, s35, v6
	v_xor_b32_e32 v6, s34, v6
	v_and_b32_e32 v4, v4, v7
	v_and_b32_e32 v73, v73, v6
	v_lshlrev_b32_e32 v7, 28, v72
	v_mov_b32_e32 v6, v5
	v_cmp_gt_i64_e64 s[34:35], 0, v[6:7]
	v_not_b32_e32 v6, v7
	v_ashrrev_i32_e32 v6, 31, v6
	;; [unrolled: 9-line block ×5, first 2 shown]
	v_xor_b32_e32 v7, s35, v6
	v_xor_b32_e32 v6, s34, v6
	v_and_b32_e32 v4, v4, v7
	v_lshlrev_b32_e32 v7, 24, v72
	v_and_b32_e32 v73, v73, v6
	v_mov_b32_e32 v6, v5
	v_not_b32_e32 v5, v7
	v_cmp_gt_i64_e64 s[34:35], 0, v[6:7]
	v_ashrrev_i32_e32 v5, 31, v5
	ds_read_b32 v71, v35 offset:16
	v_xor_b32_e32 v6, s35, v5
	v_xor_b32_e32 v7, s34, v5
	v_and_b32_e32 v5, v4, v6
	v_and_b32_e32 v4, v73, v7
	v_mbcnt_lo_u32_b32 v6, v4, 0
	v_mbcnt_hi_u32_b32 v72, v5, v6
	v_cmp_eq_u32_e64 s[34:35], 0, v72
	v_cmp_ne_u64_e64 s[36:37], 0, v[4:5]
	s_and_b64 s[36:37], s[36:37], s[34:35]
	; wave barrier
	s_and_saveexec_b64 s[34:35], s[36:37]
	s_cbranch_execz .LBB25_65
; %bb.64:
	v_bcnt_u32_b32 v4, v4, 0
	v_bcnt_u32_b32 v4, v5, v4
	s_waitcnt lgkmcnt(0)
	v_add_u32_e32 v4, v71, v4
	ds_write_b32 v35, v4 offset:16
.LBB25_65:
	s_or_b64 exec, exec, s[34:35]
	; wave barrier
	s_waitcnt lgkmcnt(0)
	s_barrier
	ds_read2_b32 v[6:7], v25 offset0:4 offset1:5
	ds_read2_b32 v[4:5], v25 offset0:6 offset1:7
	ds_read_b32 v73, v25 offset:32
	s_waitcnt lgkmcnt(1)
	v_add3_u32 v74, v7, v6, v4
	s_waitcnt lgkmcnt(0)
	v_add3_u32 v73, v74, v5, v73
	v_and_b32_e32 v74, 15, v14
	v_cmp_ne_u32_e64 s[34:35], 0, v74
	v_mov_b32_dpp v75, v73 row_shr:1 row_mask:0xf bank_mask:0xf
	s_nop 0
	v_cndmask_b32_e64 v75, 0, v75, s[34:35]
	v_add_u32_e32 v73, v75, v73
	v_cmp_lt_u32_e64 s[34:35], 1, v74
	s_nop 0
	v_mov_b32_dpp v75, v73 row_shr:2 row_mask:0xf bank_mask:0xf
	v_cndmask_b32_e64 v75, 0, v75, s[34:35]
	v_add_u32_e32 v73, v73, v75
	v_cmp_lt_u32_e64 s[34:35], 3, v74
	s_nop 0
	v_mov_b32_dpp v75, v73 row_shr:4 row_mask:0xf bank_mask:0xf
	;; [unrolled: 5-line block ×3, first 2 shown]
	v_cndmask_b32_e64 v74, 0, v75, s[34:35]
	v_add_u32_e32 v73, v73, v74
	v_bfe_i32 v75, v14, 4, 1
	v_cmp_lt_u32_e64 s[34:35], 31, v14
	v_mov_b32_dpp v74, v73 row_bcast:15 row_mask:0xf bank_mask:0xf
	v_and_b32_e32 v74, v75, v74
	v_add_u32_e32 v73, v73, v74
	v_and_b32_e32 v75, 0x3c0, v2
	v_min_u32_e32 v75, 0xc0, v75
	v_mov_b32_dpp v74, v73 row_bcast:31 row_mask:0xf bank_mask:0xf
	v_cndmask_b32_e64 v74, 0, v74, s[34:35]
	v_or_b32_e32 v75, 63, v75
	v_add_u32_e32 v73, v73, v74
	v_lshrrev_b32_e32 v74, 6, v2
	v_cmp_eq_u32_e64 s[34:35], v2, v75
	s_and_saveexec_b64 s[36:37], s[34:35]
; %bb.66:
	v_lshlrev_b32_e32 v75, 2, v74
	ds_write_b32 v75, v73
; %bb.67:
	s_or_b64 exec, exec, s[36:37]
	v_cmp_gt_u32_e64 s[34:35], 4, v2
	s_waitcnt lgkmcnt(0)
	s_barrier
	s_and_saveexec_b64 s[36:37], s[34:35]
	s_cbranch_execz .LBB25_69
; %bb.68:
	v_lshlrev_b32_e32 v75, 2, v2
	ds_read_b32 v76, v75
	v_and_b32_e32 v77, 3, v14
	v_cmp_ne_u32_e64 s[34:35], 0, v77
	s_waitcnt lgkmcnt(0)
	v_mov_b32_dpp v78, v76 row_shr:1 row_mask:0xf bank_mask:0xf
	v_cndmask_b32_e64 v78, 0, v78, s[34:35]
	v_add_u32_e32 v76, v78, v76
	v_cmp_lt_u32_e64 s[34:35], 1, v77
	s_nop 0
	v_mov_b32_dpp v78, v76 row_shr:2 row_mask:0xf bank_mask:0xf
	v_cndmask_b32_e64 v77, 0, v78, s[34:35]
	v_add_u32_e32 v76, v76, v77
	ds_write_b32 v75, v76
.LBB25_69:
	s_or_b64 exec, exec, s[36:37]
	v_cmp_lt_u32_e64 s[34:35], 63, v2
	v_mov_b32_e32 v75, 0
	s_waitcnt lgkmcnt(0)
	s_barrier
	s_and_saveexec_b64 s[36:37], s[34:35]
; %bb.70:
	v_lshl_add_u32 v74, v74, 2, -4
	ds_read_b32 v75, v74
; %bb.71:
	s_or_b64 exec, exec, s[36:37]
	v_add_u32_e32 v74, -1, v14
	v_and_b32_e32 v76, 64, v14
	v_cmp_lt_i32_e64 s[34:35], v74, v76
	s_waitcnt lgkmcnt(0)
	v_add_u32_e32 v73, v75, v73
	v_cndmask_b32_e64 v74, v74, v14, s[34:35]
	v_lshlrev_b32_e32 v74, 2, v74
	ds_bpermute_b32 v73, v74, v73
	v_cmp_eq_u32_e64 s[34:35], 0, v14
	s_waitcnt lgkmcnt(0)
	s_nop 0
	v_cndmask_b32_e64 v73, v73, v75, s[34:35]
	v_cmp_ne_u32_e64 s[34:35], 0, v2
	s_nop 1
	v_cndmask_b32_e64 v73, 0, v73, s[34:35]
	v_add_u32_e32 v6, v73, v6
	v_add_u32_e32 v7, v6, v7
	;; [unrolled: 1-line block ×4, first 2 shown]
	ds_write2_b32 v25, v73, v6 offset0:4 offset1:5
	ds_write2_b32 v25, v7, v4 offset0:6 offset1:7
	ds_write_b32 v25, v5 offset:32
	s_waitcnt lgkmcnt(0)
	s_barrier
	ds_read_b32 v6, v48 offset:16
	ds_read_b32 v7, v51 offset:16
	ds_read_b32 v48, v54 offset:16
	ds_read_b32 v51, v57 offset:16
	ds_read_b32 v54, v60 offset:16
	ds_read_b32 v57, v63 offset:16
	ds_read_b32 v60, v66 offset:16
	ds_read_b32 v63, v69 offset:16
	ds_read_b32 v66, v35 offset:16
	ds_read_b32 v27, v27 offset:16
	ds_read_b32 v29, v29 offset:16
	ds_read_b32 v32, v32 offset:16
	ds_read_b32 v35, v36 offset:16
	ds_read_b32 v69, v39 offset:16
	ds_read_b32 v73, v42 offset:16
	ds_read_b32 v74, v45 offset:16
	ds_read_b32 v4, v25 offset:16
	v_add_u32_e32 v25, 1, v2
	s_movk_i32 s34, 0x100
	v_cmp_ne_u32_e64 s[34:35], s34, v25
	v_mov_b32_e32 v5, 0x1000
	s_and_saveexec_b64 s[36:37], s[34:35]
; %bb.72:
	v_mul_u32_u24_e32 v5, 20, v25
	ds_read_b32 v5, v5 offset:16
; %bb.73:
	s_or_b64 exec, exec, s[36:37]
	s_waitcnt lgkmcnt(7)
	v_add_u32_e32 v45, v27, v26
	s_waitcnt lgkmcnt(6)
	v_add3_u32 v42, v30, v28, v29
	s_waitcnt lgkmcnt(5)
	v_add3_u32 v39, v33, v31, v32
	v_add3_u32 v32, v49, v47, v6
	v_lshlrev_b32_e32 v6, 2, v45
	s_waitcnt lgkmcnt(0)
	s_barrier
	ds_write_b32 v6, v9 offset:2048
	v_lshlrev_b32_e32 v6, 2, v42
	v_add3_u32 v36, v37, v34, v35
	ds_write_b32 v6, v8 offset:2048
	v_lshlrev_b32_e32 v6, 2, v39
	v_add3_u32 v35, v40, v38, v69
	;; [unrolled: 3-line block ×4, first 2 shown]
	ds_write_b32 v6, v13 offset:2048
	v_lshlrev_b32_e32 v6, 2, v34
	ds_write_b32 v6, v12 offset:2048
	v_lshlrev_b32_e32 v6, 2, v33
	v_add3_u32 v31, v52, v50, v7
	ds_write_b32 v6, v16 offset:2048
	v_lshlrev_b32_e32 v6, 2, v32
	v_add3_u32 v30, v55, v53, v48
	ds_write_b32 v6, v15 offset:2048
	v_lshlrev_b32_e32 v6, 2, v31
	v_add3_u32 v29, v58, v56, v51
	ds_write_b32 v6, v18 offset:2048
	v_lshlrev_b32_e32 v6, 2, v30
	v_add3_u32 v28, v61, v59, v54
	ds_write_b32 v6, v17 offset:2048
	v_lshlrev_b32_e32 v6, 2, v29
	v_add3_u32 v27, v64, v62, v57
	ds_write_b32 v6, v20 offset:2048
	v_lshlrev_b32_e32 v6, 2, v28
	v_add3_u32 v26, v67, v65, v60
	ds_write_b32 v6, v19 offset:2048
	v_lshlrev_b32_e32 v6, 2, v27
	v_add3_u32 v25, v70, v68, v63
	ds_write_b32 v6, v22 offset:2048
	v_lshlrev_b32_e32 v6, 2, v26
	v_add3_u32 v7, v72, v71, v66
	ds_write_b32 v6, v21 offset:2048
	v_lshlrev_b32_e32 v6, 2, v25
	ds_write_b32 v6, v24 offset:2048
	v_lshlrev_b32_e32 v6, 2, v7
	ds_write_b32 v6, v23 offset:2048
	v_sub_u32_e32 v6, v5, v4
	v_lshl_add_u32 v10, s2, 8, v2
	v_mov_b32_e32 v11, 0
	v_lshl_add_u64 v[8:9], v[10:11], 2, s[84:85]
	v_or_b32_e32 v5, 2.0, v6
	s_mov_b64 s[36:37], 0
	s_brev_b32 s42, -4
	s_mov_b32 s43, s3
	v_mov_b32_e32 v15, 0
	s_waitcnt lgkmcnt(0)
	s_barrier
	global_store_dword v[8:9], v5, off sc1
                                        ; implicit-def: $sgpr34_sgpr35
	s_branch .LBB25_76
.LBB25_74:                              ;   in Loop: Header=BB25_76 Depth=1
	s_or_b64 exec, exec, s[40:41]
.LBB25_75:                              ;   in Loop: Header=BB25_76 Depth=1
	s_or_b64 exec, exec, s[38:39]
	v_and_b32_e32 v10, 0x3fffffff, v5
	v_add_u32_e32 v15, v10, v15
	v_cmp_gt_i32_e64 s[34:35], -2.0, v5
	s_and_b64 s[38:39], exec, s[34:35]
	s_or_b64 s[36:37], s[38:39], s[36:37]
	s_andn2_b64 exec, exec, s[36:37]
	s_cbranch_execz .LBB25_81
.LBB25_76:                              ; =>This Loop Header: Depth=1
                                        ;     Child Loop BB25_79 Depth 2
	s_or_b64 s[34:35], s[34:35], exec
	s_cmp_eq_u32 s43, 0
	s_cbranch_scc1 .LBB25_80
; %bb.77:                               ;   in Loop: Header=BB25_76 Depth=1
	s_add_i32 s43, s43, -1
	v_lshl_add_u32 v10, s43, 8, v2
	v_lshl_add_u64 v[12:13], v[10:11], 2, s[84:85]
	global_load_dword v5, v[12:13], off sc1
	s_waitcnt vmcnt(0)
	v_cmp_gt_u32_e64 s[34:35], 2.0, v5
	s_and_saveexec_b64 s[38:39], s[34:35]
	s_cbranch_execz .LBB25_75
; %bb.78:                               ;   in Loop: Header=BB25_76 Depth=1
	s_mov_b64 s[40:41], 0
.LBB25_79:                              ;   Parent Loop BB25_76 Depth=1
                                        ; =>  This Inner Loop Header: Depth=2
	global_load_dword v5, v[12:13], off sc1
	s_waitcnt vmcnt(0)
	v_cmp_lt_u32_e64 s[34:35], s42, v5
	s_or_b64 s[40:41], s[34:35], s[40:41]
	s_andn2_b64 exec, exec, s[40:41]
	s_cbranch_execnz .LBB25_79
	s_branch .LBB25_74
.LBB25_80:                              ;   in Loop: Header=BB25_76 Depth=1
                                        ; implicit-def: $sgpr43
	s_and_b64 s[38:39], exec, s[34:35]
	s_or_b64 s[36:37], s[38:39], s[36:37]
	s_andn2_b64 exec, exec, s[36:37]
	s_cbranch_execnz .LBB25_76
.LBB25_81:
	s_or_b64 exec, exec, s[36:37]
	v_add_u32_e32 v5, v15, v6
	v_or_b32_e32 v5, 0x80000000, v5
	v_lshlrev_b32_e32 v10, 3, v2
	global_store_dword v[8:9], v5, off sc1
	global_load_dwordx2 v[8:9], v10, s[76:77]
	v_sub_co_u32_e64 v12, s[34:35], v15, v4
	v_mov_b32_e32 v5, 0
	s_nop 0
	v_subb_co_u32_e64 v13, s[34:35], 0, 0, s[34:35]
	v_cmp_gt_u32_e64 s[34:35], s86, v2
	s_waitcnt vmcnt(0)
	v_lshl_add_u64 v[8:9], v[12:13], 0, v[8:9]
	ds_write_b64 v10, v[8:9]
	s_waitcnt lgkmcnt(0)
	s_barrier
	s_and_saveexec_b64 s[36:37], s[34:35]
	s_cbranch_execz .LBB25_83
; %bb.82:
	v_lshlrev_b32_e32 v8, 2, v2
	v_sub_u32_e32 v9, v10, v8
	ds_read_b32 v9, v9 offset:2048
	s_waitcnt lgkmcnt(0)
	v_lshrrev_b32_e32 v11, s80, v9
	v_and_b32_e32 v11, s88, v11
	v_lshlrev_b32_e32 v11, 3, v11
	ds_read_b64 v[12:13], v11
	v_xor_b32_e32 v11, 0x80000000, v9
	v_mov_b32_e32 v9, v5
	s_waitcnt lgkmcnt(0)
	v_lshl_add_u64 v[12:13], v[12:13], 2, s[70:71]
	v_lshl_add_u64 v[8:9], v[12:13], 0, v[8:9]
	global_store_dword v[8:9], v11, off
.LBB25_83:
	s_or_b64 exec, exec, s[36:37]
	v_add_u32_e32 v8, 0x100, v2
	v_cmp_gt_u32_e64 s[36:37], s86, v8
	s_and_saveexec_b64 s[38:39], s[36:37]
	s_cbranch_execz .LBB25_85
; %bb.84:
	v_lshlrev_b32_e32 v8, 2, v2
	v_sub_u32_e32 v9, v10, v8
	ds_read_b32 v9, v9 offset:3072
	s_waitcnt lgkmcnt(0)
	v_lshrrev_b32_e32 v11, s80, v9
	v_and_b32_e32 v11, s88, v11
	v_lshlrev_b32_e32 v11, 3, v11
	ds_read_b64 v[12:13], v11
	v_xor_b32_e32 v11, 0x80000000, v9
	v_mov_b32_e32 v9, 0
	s_waitcnt lgkmcnt(0)
	v_lshl_add_u64 v[12:13], v[12:13], 2, s[70:71]
	v_lshl_add_u64 v[8:9], v[12:13], 0, v[8:9]
	global_store_dword v[8:9], v11, off offset:1024
.LBB25_85:
	s_or_b64 exec, exec, s[38:39]
	v_add_u32_e32 v8, 0x200, v2
	v_cmp_gt_u32_e64 s[38:39], s86, v8
	s_and_saveexec_b64 s[40:41], s[38:39]
	s_cbranch_execz .LBB25_87
; %bb.86:
	v_lshlrev_b32_e32 v8, 2, v2
	v_sub_u32_e32 v9, v10, v8
	ds_read_b32 v9, v9 offset:4096
	s_waitcnt lgkmcnt(0)
	v_lshrrev_b32_e32 v11, s80, v9
	v_and_b32_e32 v11, s88, v11
	v_lshlrev_b32_e32 v11, 3, v11
	ds_read_b64 v[12:13], v11
	v_xor_b32_e32 v11, 0x80000000, v9
	v_mov_b32_e32 v9, 0
	s_waitcnt lgkmcnt(0)
	v_lshl_add_u64 v[12:13], v[12:13], 2, s[70:71]
	v_lshl_add_u64 v[8:9], v[12:13], 0, v[8:9]
	global_store_dword v[8:9], v11, off offset:2048
.LBB25_87:
	;; [unrolled: 21-line block ×3, first 2 shown]
	s_or_b64 exec, exec, s[42:43]
	v_or_b32_e32 v8, 0x400, v2
	v_cmp_gt_u32_e64 s[42:43], s86, v8
	s_and_saveexec_b64 s[44:45], s[42:43]
	s_cbranch_execz .LBB25_91
; %bb.90:
	v_lshlrev_b32_e32 v9, 2, v2
	v_sub_u32_e32 v9, v10, v9
	ds_read_b32 v9, v9 offset:6144
	v_lshlrev_b32_e32 v8, 2, v8
	s_waitcnt lgkmcnt(0)
	v_lshrrev_b32_e32 v11, s80, v9
	v_and_b32_e32 v11, s88, v11
	v_lshlrev_b32_e32 v11, 3, v11
	ds_read_b64 v[12:13], v11
	v_xor_b32_e32 v11, 0x80000000, v9
	v_mov_b32_e32 v9, 0
	s_waitcnt lgkmcnt(0)
	v_lshl_add_u64 v[12:13], v[12:13], 2, s[70:71]
	v_lshl_add_u64 v[8:9], v[12:13], 0, v[8:9]
	global_store_dword v[8:9], v11, off
.LBB25_91:
	s_or_b64 exec, exec, s[44:45]
	v_add_u32_e32 v8, 0x500, v2
	v_cmp_gt_u32_e64 s[44:45], s86, v8
	s_and_saveexec_b64 s[46:47], s[44:45]
	s_cbranch_execz .LBB25_93
; %bb.92:
	v_lshlrev_b32_e32 v9, 2, v2
	v_sub_u32_e32 v9, v10, v9
	ds_read_b32 v9, v9 offset:7168
	v_lshlrev_b32_e32 v8, 2, v8
	s_waitcnt lgkmcnt(0)
	v_lshrrev_b32_e32 v11, s80, v9
	v_and_b32_e32 v11, s88, v11
	v_lshlrev_b32_e32 v11, 3, v11
	ds_read_b64 v[12:13], v11
	v_xor_b32_e32 v11, 0x80000000, v9
	v_mov_b32_e32 v9, 0
	s_waitcnt lgkmcnt(0)
	v_lshl_add_u64 v[12:13], v[12:13], 2, s[70:71]
	v_lshl_add_u64 v[8:9], v[12:13], 0, v[8:9]
	global_store_dword v[8:9], v11, off
.LBB25_93:
	s_or_b64 exec, exec, s[46:47]
	v_add_u32_e32 v8, 0x600, v2
	;; [unrolled: 22-line block ×3, first 2 shown]
	v_cmp_gt_u32_e64 s[48:49], s86, v8
	s_and_saveexec_b64 s[50:51], s[48:49]
	s_cbranch_execz .LBB25_97
; %bb.96:
	v_lshlrev_b32_e32 v9, 2, v2
	ds_read_b32 v9, v9 offset:9216
	v_lshlrev_b32_e32 v8, 2, v8
	s_waitcnt lgkmcnt(0)
	v_lshrrev_b32_e32 v11, s80, v9
	v_and_b32_e32 v11, s88, v11
	v_lshlrev_b32_e32 v11, 3, v11
	ds_read_b64 v[12:13], v11
	v_xor_b32_e32 v11, 0x80000000, v9
	v_mov_b32_e32 v9, 0
	s_waitcnt lgkmcnt(0)
	v_lshl_add_u64 v[12:13], v[12:13], 2, s[70:71]
	v_lshl_add_u64 v[8:9], v[12:13], 0, v[8:9]
	global_store_dword v[8:9], v11, off
.LBB25_97:
	s_or_b64 exec, exec, s[50:51]
	v_or_b32_e32 v11, 0x800, v2
	v_cmp_gt_u32_e64 s[50:51], s86, v11
	s_and_saveexec_b64 s[52:53], s[50:51]
	s_cbranch_execz .LBB25_99
; %bb.98:
	v_lshlrev_b32_e32 v8, 2, v2
	ds_read_b32 v13, v8 offset:10240
	v_lshlrev_b32_e32 v12, 2, v11
	s_waitcnt lgkmcnt(0)
	v_lshrrev_b32_e32 v8, s80, v13
	v_and_b32_e32 v8, s88, v8
	v_lshlrev_b32_e32 v8, 3, v8
	ds_read_b64 v[8:9], v8
	v_xor_b32_e32 v15, 0x80000000, v13
	v_mov_b32_e32 v13, 0
	s_waitcnt lgkmcnt(0)
	v_lshl_add_u64 v[8:9], v[8:9], 2, s[70:71]
	v_lshl_add_u64 v[8:9], v[8:9], 0, v[12:13]
	global_store_dword v[8:9], v15, off
.LBB25_99:
	s_or_b64 exec, exec, s[52:53]
	v_add_u32_e32 v12, 0x900, v2
	v_cmp_gt_u32_e64 s[52:53], s86, v12
	s_and_saveexec_b64 s[54:55], s[52:53]
	s_cbranch_execz .LBB25_101
; %bb.100:
	v_lshlrev_b32_e32 v8, 2, v2
	ds_read_b32 v13, v8 offset:11264
	v_lshlrev_b32_e32 v16, 2, v12
	v_mov_b32_e32 v17, 0
	s_waitcnt lgkmcnt(0)
	v_lshrrev_b32_e32 v8, s80, v13
	v_and_b32_e32 v8, s88, v8
	v_lshlrev_b32_e32 v8, 3, v8
	ds_read_b64 v[8:9], v8
	v_xor_b32_e32 v13, 0x80000000, v13
	s_waitcnt lgkmcnt(0)
	v_lshl_add_u64 v[8:9], v[8:9], 2, s[70:71]
	v_lshl_add_u64 v[8:9], v[8:9], 0, v[16:17]
	global_store_dword v[8:9], v13, off
.LBB25_101:
	s_or_b64 exec, exec, s[54:55]
	v_add_u32_e32 v13, 0xa00, v2
	v_cmp_gt_u32_e64 s[54:55], s86, v13
	s_and_saveexec_b64 s[56:57], s[54:55]
	s_cbranch_execz .LBB25_103
; %bb.102:
	v_lshlrev_b32_e32 v8, 2, v2
	ds_read_b32 v15, v8 offset:12288
	v_lshlrev_b32_e32 v16, 2, v13
	v_mov_b32_e32 v17, 0
	s_waitcnt lgkmcnt(0)
	v_lshrrev_b32_e32 v8, s80, v15
	v_and_b32_e32 v8, s88, v8
	v_lshlrev_b32_e32 v8, 3, v8
	ds_read_b64 v[8:9], v8
	v_xor_b32_e32 v15, 0x80000000, v15
	s_waitcnt lgkmcnt(0)
	v_lshl_add_u64 v[8:9], v[8:9], 2, s[70:71]
	v_lshl_add_u64 v[8:9], v[8:9], 0, v[16:17]
	global_store_dword v[8:9], v15, off
.LBB25_103:
	s_or_b64 exec, exec, s[56:57]
	v_add_u32_e32 v15, 0xb00, v2
	v_cmp_gt_u32_e64 s[56:57], s86, v15
	s_and_saveexec_b64 s[58:59], s[56:57]
	s_cbranch_execz .LBB25_105
; %bb.104:
	v_lshlrev_b32_e32 v8, 2, v2
	ds_read_b32 v17, v8 offset:13312
	v_lshlrev_b32_e32 v16, 2, v15
	s_waitcnt lgkmcnt(0)
	v_lshrrev_b32_e32 v8, s80, v17
	v_and_b32_e32 v8, s88, v8
	v_lshlrev_b32_e32 v8, 3, v8
	ds_read_b64 v[8:9], v8
	v_xor_b32_e32 v18, 0x80000000, v17
	v_mov_b32_e32 v17, 0
	s_waitcnt lgkmcnt(0)
	v_lshl_add_u64 v[8:9], v[8:9], 2, s[70:71]
	v_lshl_add_u64 v[8:9], v[8:9], 0, v[16:17]
	global_store_dword v[8:9], v18, off
.LBB25_105:
	s_or_b64 exec, exec, s[58:59]
	v_or_b32_e32 v16, 0xc00, v2
	v_cmp_gt_u32_e64 s[58:59], s86, v16
	s_and_saveexec_b64 s[60:61], s[58:59]
	s_cbranch_execz .LBB25_107
; %bb.106:
	v_lshlrev_b32_e32 v8, 2, v2
	ds_read_b32 v17, v8 offset:14336
	v_lshlrev_b32_e32 v18, 2, v16
	v_mov_b32_e32 v19, 0
	s_waitcnt lgkmcnt(0)
	v_lshrrev_b32_e32 v8, s80, v17
	v_and_b32_e32 v8, s88, v8
	v_lshlrev_b32_e32 v8, 3, v8
	ds_read_b64 v[8:9], v8
	v_xor_b32_e32 v17, 0x80000000, v17
	s_waitcnt lgkmcnt(0)
	v_lshl_add_u64 v[8:9], v[8:9], 2, s[70:71]
	v_lshl_add_u64 v[8:9], v[8:9], 0, v[18:19]
	global_store_dword v[8:9], v17, off
.LBB25_107:
	s_or_b64 exec, exec, s[60:61]
	v_add_u32_e32 v17, 0xd00, v2
	v_cmp_gt_u32_e64 s[60:61], s86, v17
	s_and_saveexec_b64 s[62:63], s[60:61]
	s_cbranch_execz .LBB25_109
; %bb.108:
	v_lshlrev_b32_e32 v8, 2, v2
	ds_read_b32 v19, v8 offset:15360
	v_lshlrev_b32_e32 v18, 2, v17
	s_waitcnt lgkmcnt(0)
	v_lshrrev_b32_e32 v8, s80, v19
	v_and_b32_e32 v8, s88, v8
	v_lshlrev_b32_e32 v8, 3, v8
	ds_read_b64 v[8:9], v8
	v_xor_b32_e32 v20, 0x80000000, v19
	v_mov_b32_e32 v19, 0
	s_waitcnt lgkmcnt(0)
	v_lshl_add_u64 v[8:9], v[8:9], 2, s[70:71]
	v_lshl_add_u64 v[8:9], v[8:9], 0, v[18:19]
	global_store_dword v[8:9], v20, off
.LBB25_109:
	s_or_b64 exec, exec, s[62:63]
	v_add_u32_e32 v18, 0xe00, v2
	v_cmp_gt_u32_e64 s[62:63], s86, v18
	s_and_saveexec_b64 s[64:65], s[62:63]
	s_cbranch_execz .LBB25_111
; %bb.110:
	v_lshlrev_b32_e32 v8, 2, v2
	ds_read_b32 v19, v8 offset:16384
	v_lshlrev_b32_e32 v20, 2, v18
	v_mov_b32_e32 v21, 0
	s_waitcnt lgkmcnt(0)
	v_lshrrev_b32_e32 v8, s80, v19
	v_and_b32_e32 v8, s88, v8
	v_lshlrev_b32_e32 v8, 3, v8
	ds_read_b64 v[8:9], v8
	v_xor_b32_e32 v19, 0x80000000, v19
	s_waitcnt lgkmcnt(0)
	v_lshl_add_u64 v[8:9], v[8:9], 2, s[70:71]
	v_lshl_add_u64 v[8:9], v[8:9], 0, v[20:21]
	global_store_dword v[8:9], v19, off
.LBB25_111:
	s_or_b64 exec, exec, s[64:65]
	v_add_u32_e32 v19, 0xf00, v2
	v_cmp_gt_u32_e64 s[64:65], s86, v19
	s_and_saveexec_b64 s[86:87], s[64:65]
	s_cbranch_execz .LBB25_113
; %bb.112:
	v_lshlrev_b32_e32 v8, 2, v2
	ds_read_b32 v21, v8 offset:17408
	v_lshlrev_b32_e32 v20, 2, v19
	s_waitcnt lgkmcnt(0)
	v_lshrrev_b32_e32 v8, s80, v21
	v_and_b32_e32 v8, s88, v8
	v_lshlrev_b32_e32 v8, 3, v8
	ds_read_b64 v[8:9], v8
	v_xor_b32_e32 v22, 0x80000000, v21
	v_mov_b32_e32 v21, 0
	s_waitcnt lgkmcnt(0)
	v_lshl_add_u64 v[8:9], v[8:9], 2, s[70:71]
	v_lshl_add_u64 v[8:9], v[8:9], 0, v[20:21]
	global_store_dword v[8:9], v22, off
.LBB25_113:
	s_or_b64 exec, exec, s[86:87]
	s_lshl_b64 s[82:83], s[82:83], 1
	s_add_u32 s82, s72, s82
	s_addc_u32 s83, s73, s83
	v_lshlrev_b32_e32 v8, 1, v14
	v_mov_b32_e32 v9, 0
	v_lshl_add_u64 v[20:21], s[82:83], 0, v[8:9]
	v_lshlrev_b32_e32 v8, 1, v3
	v_lshl_add_u64 v[8:9], v[20:21], 0, v[8:9]
                                        ; implicit-def: $vgpr47
	s_and_saveexec_b64 s[82:83], vcc
	s_xor_b64 s[82:83], exec, s[82:83]
	s_cbranch_execz .LBB25_129
; %bb.114:
	global_load_ushort v47, v[8:9], off
	s_or_b64 exec, exec, s[82:83]
                                        ; implicit-def: $vgpr48
	s_and_saveexec_b64 s[82:83], s[66:67]
	s_cbranch_execnz .LBB25_130
.LBB25_115:
	s_or_b64 exec, exec, s[82:83]
                                        ; implicit-def: $vgpr49
	s_and_saveexec_b64 s[66:67], s[4:5]
	s_cbranch_execz .LBB25_131
.LBB25_116:
	global_load_ushort v49, v[8:9], off offset:256
	s_or_b64 exec, exec, s[66:67]
                                        ; implicit-def: $vgpr50
	s_and_saveexec_b64 s[4:5], s[6:7]
	s_cbranch_execnz .LBB25_132
.LBB25_117:
	s_or_b64 exec, exec, s[4:5]
                                        ; implicit-def: $vgpr51
	s_and_saveexec_b64 s[4:5], s[8:9]
	s_cbranch_execz .LBB25_133
.LBB25_118:
	global_load_ushort v51, v[8:9], off offset:512
	s_or_b64 exec, exec, s[4:5]
                                        ; implicit-def: $vgpr52
	s_and_saveexec_b64 s[4:5], s[10:11]
	s_cbranch_execnz .LBB25_134
.LBB25_119:
	s_or_b64 exec, exec, s[4:5]
                                        ; implicit-def: $vgpr53
	s_and_saveexec_b64 s[4:5], s[12:13]
	s_cbranch_execz .LBB25_135
.LBB25_120:
	global_load_ushort v53, v[8:9], off offset:768
	s_or_b64 exec, exec, s[4:5]
                                        ; implicit-def: $vgpr54
	s_and_saveexec_b64 s[4:5], s[14:15]
	s_cbranch_execnz .LBB25_136
.LBB25_121:
	s_or_b64 exec, exec, s[4:5]
                                        ; implicit-def: $vgpr55
	s_and_saveexec_b64 s[4:5], s[16:17]
	s_cbranch_execz .LBB25_137
.LBB25_122:
	global_load_ushort v55, v[8:9], off offset:1024
	s_or_b64 exec, exec, s[4:5]
                                        ; implicit-def: $vgpr56
	s_and_saveexec_b64 s[4:5], s[18:19]
	s_cbranch_execnz .LBB25_138
.LBB25_123:
	s_or_b64 exec, exec, s[4:5]
                                        ; implicit-def: $vgpr57
	s_and_saveexec_b64 s[4:5], s[20:21]
	s_cbranch_execz .LBB25_139
.LBB25_124:
	global_load_ushort v57, v[8:9], off offset:1280
	s_or_b64 exec, exec, s[4:5]
                                        ; implicit-def: $vgpr58
	s_and_saveexec_b64 s[4:5], s[22:23]
	s_cbranch_execnz .LBB25_140
.LBB25_125:
	s_or_b64 exec, exec, s[4:5]
                                        ; implicit-def: $vgpr59
	s_and_saveexec_b64 s[4:5], s[24:25]
	s_cbranch_execz .LBB25_141
.LBB25_126:
	global_load_ushort v59, v[8:9], off offset:1536
	s_or_b64 exec, exec, s[4:5]
                                        ; implicit-def: $vgpr60
	s_and_saveexec_b64 s[4:5], s[26:27]
	s_cbranch_execnz .LBB25_142
.LBB25_127:
	s_or_b64 exec, exec, s[4:5]
                                        ; implicit-def: $vgpr61
	s_and_saveexec_b64 s[4:5], s[28:29]
	s_cbranch_execz .LBB25_143
.LBB25_128:
	global_load_ushort v61, v[8:9], off offset:1792
	s_or_b64 exec, exec, s[4:5]
                                        ; implicit-def: $vgpr62
	s_and_saveexec_b64 s[4:5], s[30:31]
	s_cbranch_execnz .LBB25_144
	s_branch .LBB25_145
.LBB25_129:
	s_or_b64 exec, exec, s[82:83]
                                        ; implicit-def: $vgpr48
	s_and_saveexec_b64 s[82:83], s[66:67]
	s_cbranch_execz .LBB25_115
.LBB25_130:
	global_load_ushort v48, v[8:9], off offset:128
	s_or_b64 exec, exec, s[82:83]
                                        ; implicit-def: $vgpr49
	s_and_saveexec_b64 s[66:67], s[4:5]
	s_cbranch_execnz .LBB25_116
.LBB25_131:
	s_or_b64 exec, exec, s[66:67]
                                        ; implicit-def: $vgpr50
	s_and_saveexec_b64 s[4:5], s[6:7]
	s_cbranch_execz .LBB25_117
.LBB25_132:
	global_load_ushort v50, v[8:9], off offset:384
	s_or_b64 exec, exec, s[4:5]
                                        ; implicit-def: $vgpr51
	s_and_saveexec_b64 s[4:5], s[8:9]
	s_cbranch_execnz .LBB25_118
.LBB25_133:
	s_or_b64 exec, exec, s[4:5]
                                        ; implicit-def: $vgpr52
	s_and_saveexec_b64 s[4:5], s[10:11]
	s_cbranch_execz .LBB25_119
.LBB25_134:
	global_load_ushort v52, v[8:9], off offset:640
	s_or_b64 exec, exec, s[4:5]
                                        ; implicit-def: $vgpr53
	s_and_saveexec_b64 s[4:5], s[12:13]
	s_cbranch_execnz .LBB25_120
.LBB25_135:
	s_or_b64 exec, exec, s[4:5]
                                        ; implicit-def: $vgpr54
	s_and_saveexec_b64 s[4:5], s[14:15]
	s_cbranch_execz .LBB25_121
.LBB25_136:
	global_load_ushort v54, v[8:9], off offset:896
	s_or_b64 exec, exec, s[4:5]
                                        ; implicit-def: $vgpr55
	s_and_saveexec_b64 s[4:5], s[16:17]
	s_cbranch_execnz .LBB25_122
.LBB25_137:
	s_or_b64 exec, exec, s[4:5]
                                        ; implicit-def: $vgpr56
	s_and_saveexec_b64 s[4:5], s[18:19]
	s_cbranch_execz .LBB25_123
.LBB25_138:
	global_load_ushort v56, v[8:9], off offset:1152
	s_or_b64 exec, exec, s[4:5]
                                        ; implicit-def: $vgpr57
	s_and_saveexec_b64 s[4:5], s[20:21]
	s_cbranch_execnz .LBB25_124
.LBB25_139:
	s_or_b64 exec, exec, s[4:5]
                                        ; implicit-def: $vgpr58
	s_and_saveexec_b64 s[4:5], s[22:23]
	s_cbranch_execz .LBB25_125
.LBB25_140:
	global_load_ushort v58, v[8:9], off offset:1408
	s_or_b64 exec, exec, s[4:5]
                                        ; implicit-def: $vgpr59
	s_and_saveexec_b64 s[4:5], s[24:25]
	s_cbranch_execnz .LBB25_126
.LBB25_141:
	s_or_b64 exec, exec, s[4:5]
                                        ; implicit-def: $vgpr60
	s_and_saveexec_b64 s[4:5], s[26:27]
	s_cbranch_execz .LBB25_127
.LBB25_142:
	global_load_ushort v60, v[8:9], off offset:1664
	s_or_b64 exec, exec, s[4:5]
                                        ; implicit-def: $vgpr61
	s_and_saveexec_b64 s[4:5], s[28:29]
	s_cbranch_execnz .LBB25_128
.LBB25_143:
	s_or_b64 exec, exec, s[4:5]
                                        ; implicit-def: $vgpr62
	s_and_saveexec_b64 s[4:5], s[30:31]
	s_cbranch_execz .LBB25_145
.LBB25_144:
	global_load_ushort v62, v[8:9], off offset:1920
.LBB25_145:
	s_or_b64 exec, exec, s[4:5]
	v_mov_b32_e32 v41, 0
	v_mov_b32_e32 v46, 0
	s_and_saveexec_b64 s[4:5], s[34:35]
	s_cbranch_execz .LBB25_147
; %bb.146:
	v_lshlrev_b32_e32 v3, 2, v2
	ds_read_b32 v3, v3 offset:2048
	s_waitcnt lgkmcnt(0)
	v_lshrrev_b32_e32 v3, s80, v3
	v_and_b32_e32 v46, s88, v3
.LBB25_147:
	s_or_b64 exec, exec, s[4:5]
	s_and_saveexec_b64 s[4:5], s[36:37]
	s_cbranch_execz .LBB25_149
; %bb.148:
	v_lshlrev_b32_e32 v3, 2, v2
	ds_read_b32 v3, v3 offset:3072
	s_waitcnt lgkmcnt(0)
	v_lshrrev_b32_e32 v3, s80, v3
	v_and_b32_e32 v41, s88, v3
.LBB25_149:
	s_or_b64 exec, exec, s[4:5]
	v_mov_b32_e32 v38, 0
	v_mov_b32_e32 v44, 0
	s_and_saveexec_b64 s[4:5], s[38:39]
	s_cbranch_execz .LBB25_151
; %bb.150:
	v_lshlrev_b32_e32 v3, 2, v2
	ds_read_b32 v3, v3 offset:4096
	s_waitcnt lgkmcnt(0)
	v_lshrrev_b32_e32 v3, s80, v3
	v_and_b32_e32 v44, s88, v3
.LBB25_151:
	s_or_b64 exec, exec, s[4:5]
	s_and_saveexec_b64 s[4:5], s[40:41]
	s_cbranch_execz .LBB25_153
; %bb.152:
	v_lshlrev_b32_e32 v3, 2, v2
	ds_read_b32 v3, v3 offset:5120
	s_waitcnt lgkmcnt(0)
	v_lshrrev_b32_e32 v3, s80, v3
	v_and_b32_e32 v38, s88, v3
.LBB25_153:
	;; [unrolled: 22-line block ×8, first 2 shown]
	s_or_b64 exec, exec, s[4:5]
	v_lshlrev_b32_e32 v45, 1, v45
	v_lshlrev_b32_e32 v42, 1, v42
	;; [unrolled: 1-line block ×16, first 2 shown]
	s_barrier
	s_waitcnt vmcnt(0)
	ds_write_b16 v45, v47 offset:2048
	ds_write_b16 v42, v48 offset:2048
	;; [unrolled: 1-line block ×16, first 2 shown]
	s_waitcnt lgkmcnt(0)
	s_barrier
	s_and_saveexec_b64 s[4:5], s[34:35]
	s_cbranch_execz .LBB25_248
; %bb.178:
	v_lshlrev_b32_e32 v7, 3, v46
	ds_read_b64 v[26:27], v7
	v_lshlrev_b32_e32 v28, 1, v2
	ds_read_u16 v7, v28 offset:2048
	v_mov_b32_e32 v29, 0
	s_waitcnt lgkmcnt(1)
	v_lshl_add_u64 v[26:27], v[26:27], 1, s[74:75]
	v_lshl_add_u64 v[26:27], v[26:27], 0, v[28:29]
	s_waitcnt lgkmcnt(0)
	global_store_short v[26:27], v7, off
	s_or_b64 exec, exec, s[4:5]
	s_and_saveexec_b64 s[4:5], s[36:37]
	s_cbranch_execnz .LBB25_249
.LBB25_179:
	s_or_b64 exec, exec, s[4:5]
	s_and_saveexec_b64 s[4:5], s[38:39]
	s_cbranch_execz .LBB25_250
.LBB25_180:
	v_lshlrev_b32_e32 v7, 3, v44
	ds_read_b64 v[26:27], v7
	v_lshlrev_b32_e32 v28, 1, v2
	ds_read_u16 v7, v28 offset:3072
	v_mov_b32_e32 v29, 0
	s_waitcnt lgkmcnt(1)
	v_lshl_add_u64 v[26:27], v[26:27], 1, s[74:75]
	v_lshl_add_u64 v[26:27], v[26:27], 0, v[28:29]
	s_waitcnt lgkmcnt(0)
	global_store_short v[26:27], v7, off offset:1024
	s_or_b64 exec, exec, s[4:5]
	s_and_saveexec_b64 s[4:5], s[40:41]
	s_cbranch_execnz .LBB25_251
.LBB25_181:
	s_or_b64 exec, exec, s[4:5]
	s_and_saveexec_b64 s[4:5], s[42:43]
	s_cbranch_execz .LBB25_252
.LBB25_182:
	v_lshlrev_b32_e32 v7, 3, v43
	ds_read_b64 v[26:27], v7
	v_lshlrev_b32_e32 v28, 1, v2
	ds_read_u16 v7, v28 offset:4096
	v_mov_b32_e32 v29, 0
	s_waitcnt lgkmcnt(1)
	v_lshl_add_u64 v[26:27], v[26:27], 1, s[74:75]
	v_lshl_add_u64 v[26:27], v[26:27], 0, v[28:29]
	s_waitcnt lgkmcnt(0)
	global_store_short v[26:27], v7, off offset:2048
	s_or_b64 exec, exec, s[4:5]
	s_and_saveexec_b64 s[4:5], s[44:45]
	s_cbranch_execnz .LBB25_253
.LBB25_183:
	s_or_b64 exec, exec, s[4:5]
	s_and_saveexec_b64 s[4:5], s[46:47]
	s_cbranch_execz .LBB25_254
.LBB25_184:
	v_lshlrev_b32_e32 v7, 3, v40
	ds_read_b64 v[24:25], v7
	v_lshlrev_b32_e32 v26, 1, v2
	ds_read_u16 v7, v26 offset:5120
	v_mov_b32_e32 v27, 0
	s_waitcnt lgkmcnt(1)
	v_lshl_add_u64 v[24:25], v[24:25], 1, s[74:75]
	v_lshl_add_u64 v[24:25], v[24:25], 0, v[26:27]
	s_waitcnt lgkmcnt(0)
	global_store_short v[24:25], v7, off offset:3072
	s_or_b64 exec, exec, s[4:5]
	s_and_saveexec_b64 s[4:5], s[48:49]
	s_cbranch_execnz .LBB25_255
.LBB25_185:
	s_or_b64 exec, exec, s[4:5]
	s_and_saveexec_b64 s[4:5], s[50:51]
	s_cbranch_execz .LBB25_256
.LBB25_186:
	v_lshlrev_b32_e32 v7, 3, v37
	ds_read_b64 v[24:25], v7
	v_lshlrev_b32_e32 v7, 1, v2
	ds_read_u16 v7, v7 offset:6144
	v_lshlrev_b32_e32 v26, 1, v11
	v_mov_b32_e32 v27, 0
	s_waitcnt lgkmcnt(1)
	v_lshl_add_u64 v[24:25], v[24:25], 1, s[74:75]
	v_lshl_add_u64 v[24:25], v[24:25], 0, v[26:27]
	s_waitcnt lgkmcnt(0)
	global_store_short v[24:25], v7, off
	s_or_b64 exec, exec, s[4:5]
	s_and_saveexec_b64 s[4:5], s[52:53]
	s_cbranch_execnz .LBB25_257
.LBB25_187:
	s_or_b64 exec, exec, s[4:5]
	s_and_saveexec_b64 s[4:5], s[54:55]
	s_cbranch_execz .LBB25_258
.LBB25_188:
	v_lshlrev_b32_e32 v7, 3, v22
	ds_read_b64 v[22:23], v7
	v_lshlrev_b32_e32 v7, 1, v2
	ds_read_u16 v7, v7 offset:7168
	v_lshlrev_b32_e32 v12, 1, v13
	v_mov_b32_e32 v13, 0
	s_waitcnt lgkmcnt(1)
	v_lshl_add_u64 v[22:23], v[22:23], 1, s[74:75]
	v_lshl_add_u64 v[12:13], v[22:23], 0, v[12:13]
	s_waitcnt lgkmcnt(0)
	global_store_short v[12:13], v7, off
	s_or_b64 exec, exec, s[4:5]
	s_and_saveexec_b64 s[4:5], s[56:57]
	s_cbranch_execnz .LBB25_259
.LBB25_189:
	s_or_b64 exec, exec, s[4:5]
	s_and_saveexec_b64 s[4:5], s[58:59]
	s_cbranch_execz .LBB25_260
.LBB25_190:
	v_lshlrev_b32_e32 v7, 3, v20
	ds_read_b64 v[12:13], v7
	v_lshlrev_b32_e32 v7, 1, v2
	ds_read_u16 v7, v7 offset:8192
	v_lshlrev_b32_e32 v14, 1, v16
	v_mov_b32_e32 v15, 0
	s_waitcnt lgkmcnt(1)
	v_lshl_add_u64 v[12:13], v[12:13], 1, s[74:75]
	v_lshl_add_u64 v[12:13], v[12:13], 0, v[14:15]
	s_waitcnt lgkmcnt(0)
	global_store_short v[12:13], v7, off
	s_or_b64 exec, exec, s[4:5]
	s_and_saveexec_b64 s[4:5], s[60:61]
	s_cbranch_execnz .LBB25_261
.LBB25_191:
	s_or_b64 exec, exec, s[4:5]
	s_and_saveexec_b64 s[4:5], s[62:63]
	s_cbranch_execz .LBB25_262
.LBB25_192:
	v_lshlrev_b32_e32 v7, 3, v9
	ds_read_b64 v[8:9], v7
	v_lshlrev_b32_e32 v7, 1, v2
	ds_read_u16 v7, v7 offset:9216
	v_lshlrev_b32_e32 v12, 1, v18
	v_mov_b32_e32 v13, 0
	s_waitcnt lgkmcnt(1)
	v_lshl_add_u64 v[8:9], v[8:9], 1, s[74:75]
	v_lshl_add_u64 v[8:9], v[8:9], 0, v[12:13]
	s_waitcnt lgkmcnt(0)
	global_store_short v[8:9], v7, off
	s_or_b64 exec, exec, s[4:5]
	s_and_saveexec_b64 s[4:5], s[64:65]
	s_cbranch_execnz .LBB25_263
.LBB25_193:
	s_or_b64 exec, exec, s[4:5]
	s_add_i32 s33, s33, -1
	s_cmp_eq_u32 s2, s33
	s_cbranch_scc0 .LBB25_195
.LBB25_194:
	ds_read_b64 v[2:3], v10
	v_mov_b32_e32 v7, 0
	v_lshl_add_u64 v[4:5], v[6:7], 0, v[4:5]
	s_waitcnt lgkmcnt(0)
	v_lshl_add_u64 v[2:3], v[4:5], 0, v[2:3]
	global_store_dwordx2 v10, v[2:3], s[78:79]
.LBB25_195:
	s_mov_b64 s[4:5], 0
.LBB25_196:
	s_and_b64 vcc, exec, s[4:5]
	s_cbranch_vccz .LBB25_247
; %bb.197:
	s_lshl_b32 s8, s2, 12
	s_mov_b32 s9, 0
	v_and_b32_e32 v2, 0x3ff, v0
	s_lshl_b64 s[4:5], s[8:9], 2
	s_add_u32 s4, s68, s4
	v_mbcnt_hi_u32_b32 v14, -1, v1
	v_lshlrev_b32_e32 v1, 4, v2
	s_addc_u32 s5, s69, s5
	v_and_b32_e32 v3, 0xc00, v1
	v_mov_b32_e32 v5, 0
	v_lshlrev_b32_e32 v4, 2, v14
	v_lshl_add_u64 v[6:7], s[4:5], 0, v[4:5]
	v_lshlrev_b32_e32 v4, 2, v3
	v_lshl_add_u64 v[8:9], v[6:7], 0, v[4:5]
	global_load_dword v1, v[8:9], off
	s_load_dword s4, s[0:1], 0x5c
	s_load_dword s10, s[0:1], 0x50
	s_add_u32 s0, s0, 0x50
	s_addc_u32 s1, s1, 0
	v_mul_u32_u24_e32 v7, 20, v2
	s_waitcnt lgkmcnt(0)
	s_lshr_b32 s4, s4, 16
	s_cmp_lt_u32 s2, s10
	s_cselect_b32 s5, 12, 18
	s_add_u32 s0, s0, s5
	s_addc_u32 s1, s1, 0
	global_load_ushort v11, v5, s[0:1]
	ds_write2_b32 v7, v5, v5 offset0:4 offset1:5
	ds_write2_b32 v7, v5, v5 offset0:6 offset1:7
	ds_write_b32 v7, v5 offset:32
	global_load_dword v10, v[8:9], off offset:256
	global_load_dword v15, v[8:9], off offset:512
	;; [unrolled: 1-line block ×15, first 2 shown]
	v_bfe_u32 v4, v0, 10, 10
	v_bfe_u32 v13, v0, 20, 10
	s_lshl_b32 s0, -1, s81
	v_mad_u32_u24 v9, v13, s4, v4
	v_mov_b32_e32 v0, v5
	s_not_b32 s11, s0
	v_mov_b32_e32 v12, v5
	v_mov_b32_e32 v16, v5
	v_mov_b32_e32 v22, v5
	s_waitcnt lgkmcnt(0)
	s_barrier
	s_waitcnt vmcnt(16)
	; wave barrier
	v_xor_b32_e32 v8, 0x80000000, v1
	v_lshrrev_b32_e32 v1, s80, v8
	v_bitop3_b32 v21, v1, s0, v1 bitop3:0x30
	v_and_b32_e32 v4, 1, v21
	v_lshlrev_b32_e32 v1, 30, v21
	v_lshlrev_b32_e32 v13, 29, v21
	v_lshl_add_u64 v[26:27], v[4:5], 0, -1
	v_cmp_ne_u32_e32 vcc, 0, v4
	v_lshlrev_b32_e32 v17, 28, v21
	v_cmp_gt_i64_e64 s[4:5], 0, v[12:13]
	s_waitcnt vmcnt(15)
	v_mad_u64_u32 v[18:19], s[0:1], v9, v11, v[2:3]
	v_cmp_gt_i64_e64 s[0:1], 0, v[0:1]
	v_not_b32_e32 v0, v1
	v_not_b32_e32 v1, v13
	v_xor_b32_e32 v12, vcc_lo, v26
	v_ashrrev_i32_e32 v0, 31, v0
	v_not_b32_e32 v4, v17
	v_ashrrev_i32_e32 v1, 31, v1
	v_and_b32_e32 v12, exec_lo, v12
	v_xor_b32_e32 v13, s1, v0
	v_xor_b32_e32 v0, s0, v0
	v_cmp_gt_i64_e64 s[6:7], 0, v[16:17]
	v_xor_b32_e32 v11, vcc_hi, v27
	v_ashrrev_i32_e32 v4, 31, v4
	v_xor_b32_e32 v16, s5, v1
	v_xor_b32_e32 v1, s4, v1
	v_and_b32_e32 v0, v12, v0
	v_lshlrev_b32_e32 v23, 27, v21
	v_and_b32_e32 v11, exec_hi, v11
	v_xor_b32_e32 v17, s7, v4
	v_xor_b32_e32 v4, s6, v4
	v_and_b32_e32 v0, v0, v1
	v_and_b32_e32 v11, v11, v13
	;; [unrolled: 1-line block ×3, first 2 shown]
	v_not_b32_e32 v4, v23
	v_and_b32_e32 v11, v11, v16
	v_cmp_gt_i64_e32 vcc, 0, v[22:23]
	v_ashrrev_i32_e32 v4, 31, v4
	v_and_b32_e32 v1, v11, v17
	v_xor_b32_e32 v11, vcc_hi, v4
	v_xor_b32_e32 v4, vcc_lo, v4
	v_and_b32_e32 v11, v1, v11
	v_and_b32_e32 v4, v0, v4
	v_lshlrev_b32_e32 v1, 26, v21
	v_mov_b32_e32 v0, v5
	v_cmp_gt_i64_e32 vcc, 0, v[0:1]
	v_not_b32_e32 v0, v1
	v_ashrrev_i32_e32 v0, 31, v0
	v_xor_b32_e32 v1, vcc_hi, v0
	v_xor_b32_e32 v0, vcc_lo, v0
	v_and_b32_e32 v11, v11, v1
	v_and_b32_e32 v4, v4, v0
	v_lshlrev_b32_e32 v1, 25, v21
	v_mov_b32_e32 v0, v5
	v_cmp_gt_i64_e32 vcc, 0, v[0:1]
	v_not_b32_e32 v0, v1
	v_ashrrev_i32_e32 v0, 31, v0
	;; [unrolled: 9-line block ×3, first 2 shown]
	v_xor_b32_e32 v1, vcc_hi, v0
	v_xor_b32_e32 v0, vcc_lo, v0
	v_and_b32_e32 v0, v4, v0
	v_and_b32_e32 v1, v11, v1
	v_mbcnt_lo_u32_b32 v4, v0, 0
	v_mbcnt_hi_u32_b32 v11, v1, v4
	v_mul_lo_u32 v28, v21, 20
	v_lshrrev_b32_e32 v19, 6, v18
	v_cmp_eq_u32_e32 vcc, 0, v11
	v_cmp_ne_u64_e64 s[0:1], 0, v[0:1]
	v_lshl_add_u32 v9, v19, 2, v28
	s_and_b64 s[4:5], s[0:1], vcc
	s_and_saveexec_b64 s[0:1], s[4:5]
; %bb.198:
	v_bcnt_u32_b32 v0, v0, 0
	v_bcnt_u32_b32 v0, v1, v0
	ds_write_b32 v9, v0 offset:16
; %bb.199:
	s_or_b64 exec, exec, s[0:1]
	s_waitcnt vmcnt(14)
	v_xor_b32_e32 v10, 0x80000000, v10
	v_lshrrev_b32_e32 v0, s80, v10
	v_and_b32_e32 v16, s11, v0
	v_mul_lo_u32 v0, v16, 20
	v_and_b32_e32 v4, 1, v16
	v_lshl_add_u32 v13, v19, 2, v0
	v_lshl_add_u64 v[0:1], v[4:5], 0, -1
	v_cmp_ne_u32_e32 vcc, 0, v4
	; wave barrier
	s_nop 1
	v_xor_b32_e32 v1, vcc_hi, v1
	v_xor_b32_e32 v0, vcc_lo, v0
	v_and_b32_e32 v4, exec_hi, v1
	v_and_b32_e32 v17, exec_lo, v0
	v_lshlrev_b32_e32 v1, 30, v16
	v_mov_b32_e32 v0, v5
	v_cmp_gt_i64_e32 vcc, 0, v[0:1]
	v_not_b32_e32 v0, v1
	v_ashrrev_i32_e32 v0, 31, v0
	v_xor_b32_e32 v1, vcc_hi, v0
	v_xor_b32_e32 v0, vcc_lo, v0
	v_and_b32_e32 v4, v4, v1
	v_and_b32_e32 v17, v17, v0
	v_lshlrev_b32_e32 v1, 29, v16
	v_mov_b32_e32 v0, v5
	v_cmp_gt_i64_e32 vcc, 0, v[0:1]
	v_not_b32_e32 v0, v1
	v_ashrrev_i32_e32 v0, 31, v0
	v_xor_b32_e32 v1, vcc_hi, v0
	v_xor_b32_e32 v0, vcc_lo, v0
	v_and_b32_e32 v4, v4, v1
	v_and_b32_e32 v17, v17, v0
	;; [unrolled: 9-line block ×6, first 2 shown]
	v_lshlrev_b32_e32 v1, 24, v16
	v_mov_b32_e32 v0, v5
	v_cmp_gt_i64_e32 vcc, 0, v[0:1]
	v_not_b32_e32 v0, v1
	v_ashrrev_i32_e32 v0, 31, v0
	v_xor_b32_e32 v1, vcc_hi, v0
	v_xor_b32_e32 v0, vcc_lo, v0
	ds_read_b32 v12, v13 offset:16
	v_and_b32_e32 v0, v17, v0
	v_and_b32_e32 v1, v4, v1
	v_mbcnt_lo_u32_b32 v4, v0, 0
	v_mbcnt_hi_u32_b32 v16, v1, v4
	v_cmp_eq_u32_e32 vcc, 0, v16
	v_cmp_ne_u64_e64 s[0:1], 0, v[0:1]
	s_and_b64 s[4:5], s[0:1], vcc
	; wave barrier
	s_and_saveexec_b64 s[0:1], s[4:5]
	s_cbranch_execz .LBB25_201
; %bb.200:
	v_bcnt_u32_b32 v0, v0, 0
	v_bcnt_u32_b32 v0, v1, v0
	s_waitcnt lgkmcnt(0)
	v_add_u32_e32 v0, v12, v0
	ds_write_b32 v13, v0 offset:16
.LBB25_201:
	s_or_b64 exec, exec, s[0:1]
	s_waitcnt vmcnt(13)
	v_xor_b32_e32 v15, 0x80000000, v15
	v_lshrrev_b32_e32 v0, s80, v15
	v_and_b32_e32 v21, s11, v0
	v_mul_lo_u32 v0, v21, 20
	v_lshl_add_u32 v18, v19, 2, v0
	v_and_b32_e32 v0, 1, v21
	v_mov_b32_e32 v1, 0
	v_lshl_add_u64 v[4:5], v[0:1], 0, -1
	v_cmp_ne_u32_e32 vcc, 0, v0
	; wave barrier
	s_nop 1
	v_xor_b32_e32 v4, vcc_lo, v4
	v_xor_b32_e32 v0, vcc_hi, v5
	v_and_b32_e32 v22, exec_lo, v4
	v_lshlrev_b32_e32 v5, 30, v21
	v_mov_b32_e32 v4, v1
	v_cmp_gt_i64_e32 vcc, 0, v[4:5]
	v_not_b32_e32 v4, v5
	v_ashrrev_i32_e32 v4, 31, v4
	v_and_b32_e32 v0, exec_hi, v0
	v_xor_b32_e32 v5, vcc_hi, v4
	v_xor_b32_e32 v4, vcc_lo, v4
	v_and_b32_e32 v0, v0, v5
	v_and_b32_e32 v22, v22, v4
	v_lshlrev_b32_e32 v5, 29, v21
	v_mov_b32_e32 v4, v1
	v_cmp_gt_i64_e32 vcc, 0, v[4:5]
	v_not_b32_e32 v4, v5
	v_ashrrev_i32_e32 v4, 31, v4
	v_xor_b32_e32 v5, vcc_hi, v4
	v_xor_b32_e32 v4, vcc_lo, v4
	v_and_b32_e32 v0, v0, v5
	v_and_b32_e32 v22, v22, v4
	v_lshlrev_b32_e32 v5, 28, v21
	v_mov_b32_e32 v4, v1
	v_cmp_gt_i64_e32 vcc, 0, v[4:5]
	v_not_b32_e32 v4, v5
	v_ashrrev_i32_e32 v4, 31, v4
	;; [unrolled: 9-line block ×6, first 2 shown]
	v_xor_b32_e32 v5, vcc_hi, v4
	v_xor_b32_e32 v4, vcc_lo, v4
	ds_read_b32 v17, v18 offset:16
	v_and_b32_e32 v4, v22, v4
	v_and_b32_e32 v5, v0, v5
	v_mbcnt_lo_u32_b32 v0, v4, 0
	v_mbcnt_hi_u32_b32 v21, v5, v0
	v_cmp_eq_u32_e32 vcc, 0, v21
	v_cmp_ne_u64_e64 s[0:1], 0, v[4:5]
	s_and_b64 s[4:5], s[0:1], vcc
	; wave barrier
	s_and_saveexec_b64 s[0:1], s[4:5]
	s_cbranch_execz .LBB25_203
; %bb.202:
	v_bcnt_u32_b32 v0, v4, 0
	v_bcnt_u32_b32 v0, v5, v0
	s_waitcnt lgkmcnt(0)
	v_add_u32_e32 v0, v17, v0
	ds_write_b32 v18, v0 offset:16
.LBB25_203:
	s_or_b64 exec, exec, s[0:1]
	s_waitcnt vmcnt(12)
	v_xor_b32_e32 v20, 0x80000000, v20
	v_lshrrev_b32_e32 v0, s80, v20
	v_and_b32_e32 v26, s11, v0
	v_mul_lo_u32 v0, v26, 20
	v_lshl_add_u32 v23, v19, 2, v0
	v_and_b32_e32 v0, 1, v26
	v_lshl_add_u64 v[4:5], v[0:1], 0, -1
	v_cmp_ne_u32_e32 vcc, 0, v0
	; wave barrier
	s_nop 1
	v_xor_b32_e32 v4, vcc_lo, v4
	v_xor_b32_e32 v0, vcc_hi, v5
	v_and_b32_e32 v27, exec_lo, v4
	v_lshlrev_b32_e32 v5, 30, v26
	v_mov_b32_e32 v4, v1
	v_cmp_gt_i64_e32 vcc, 0, v[4:5]
	v_not_b32_e32 v4, v5
	v_ashrrev_i32_e32 v4, 31, v4
	v_and_b32_e32 v0, exec_hi, v0
	v_xor_b32_e32 v5, vcc_hi, v4
	v_xor_b32_e32 v4, vcc_lo, v4
	v_and_b32_e32 v0, v0, v5
	v_and_b32_e32 v27, v27, v4
	v_lshlrev_b32_e32 v5, 29, v26
	v_mov_b32_e32 v4, v1
	v_cmp_gt_i64_e32 vcc, 0, v[4:5]
	v_not_b32_e32 v4, v5
	v_ashrrev_i32_e32 v4, 31, v4
	v_xor_b32_e32 v5, vcc_hi, v4
	v_xor_b32_e32 v4, vcc_lo, v4
	v_and_b32_e32 v0, v0, v5
	v_and_b32_e32 v27, v27, v4
	v_lshlrev_b32_e32 v5, 28, v26
	v_mov_b32_e32 v4, v1
	v_cmp_gt_i64_e32 vcc, 0, v[4:5]
	v_not_b32_e32 v4, v5
	v_ashrrev_i32_e32 v4, 31, v4
	;; [unrolled: 9-line block ×5, first 2 shown]
	v_xor_b32_e32 v5, vcc_hi, v4
	v_xor_b32_e32 v4, vcc_lo, v4
	v_and_b32_e32 v0, v0, v5
	v_lshlrev_b32_e32 v5, 24, v26
	v_and_b32_e32 v27, v27, v4
	v_mov_b32_e32 v4, v1
	v_not_b32_e32 v1, v5
	v_cmp_gt_i64_e32 vcc, 0, v[4:5]
	v_ashrrev_i32_e32 v1, 31, v1
	ds_read_b32 v22, v23 offset:16
	v_xor_b32_e32 v4, vcc_hi, v1
	v_xor_b32_e32 v5, vcc_lo, v1
	v_and_b32_e32 v1, v0, v4
	v_and_b32_e32 v0, v27, v5
	v_mbcnt_lo_u32_b32 v4, v0, 0
	v_mbcnt_hi_u32_b32 v26, v1, v4
	v_cmp_eq_u32_e32 vcc, 0, v26
	v_cmp_ne_u64_e64 s[0:1], 0, v[0:1]
	s_and_b64 s[4:5], s[0:1], vcc
	; wave barrier
	s_and_saveexec_b64 s[0:1], s[4:5]
	s_cbranch_execz .LBB25_205
; %bb.204:
	v_bcnt_u32_b32 v0, v0, 0
	v_bcnt_u32_b32 v0, v1, v0
	s_waitcnt lgkmcnt(0)
	v_add_u32_e32 v0, v22, v0
	ds_write_b32 v23, v0 offset:16
.LBB25_205:
	s_or_b64 exec, exec, s[0:1]
	s_waitcnt vmcnt(11)
	v_xor_b32_e32 v25, 0x80000000, v25
	v_lshrrev_b32_e32 v0, s80, v25
	v_and_b32_e32 v31, s11, v0
	v_mul_lo_u32 v0, v31, 20
	v_lshl_add_u32 v28, v19, 2, v0
	v_and_b32_e32 v0, 1, v31
	v_mov_b32_e32 v1, 0
	v_lshl_add_u64 v[4:5], v[0:1], 0, -1
	v_cmp_ne_u32_e32 vcc, 0, v0
	; wave barrier
	s_nop 1
	v_xor_b32_e32 v4, vcc_lo, v4
	v_xor_b32_e32 v0, vcc_hi, v5
	v_and_b32_e32 v32, exec_lo, v4
	v_lshlrev_b32_e32 v5, 30, v31
	v_mov_b32_e32 v4, v1
	v_cmp_gt_i64_e32 vcc, 0, v[4:5]
	v_not_b32_e32 v4, v5
	v_ashrrev_i32_e32 v4, 31, v4
	v_and_b32_e32 v0, exec_hi, v0
	v_xor_b32_e32 v5, vcc_hi, v4
	v_xor_b32_e32 v4, vcc_lo, v4
	v_and_b32_e32 v0, v0, v5
	v_and_b32_e32 v32, v32, v4
	v_lshlrev_b32_e32 v5, 29, v31
	v_mov_b32_e32 v4, v1
	v_cmp_gt_i64_e32 vcc, 0, v[4:5]
	v_not_b32_e32 v4, v5
	v_ashrrev_i32_e32 v4, 31, v4
	v_xor_b32_e32 v5, vcc_hi, v4
	v_xor_b32_e32 v4, vcc_lo, v4
	v_and_b32_e32 v0, v0, v5
	v_and_b32_e32 v32, v32, v4
	v_lshlrev_b32_e32 v5, 28, v31
	v_mov_b32_e32 v4, v1
	v_cmp_gt_i64_e32 vcc, 0, v[4:5]
	v_not_b32_e32 v4, v5
	v_ashrrev_i32_e32 v4, 31, v4
	v_xor_b32_e32 v5, vcc_hi, v4
	v_xor_b32_e32 v4, vcc_lo, v4
	v_and_b32_e32 v0, v0, v5
	v_and_b32_e32 v32, v32, v4
	v_lshlrev_b32_e32 v5, 27, v31
	v_mov_b32_e32 v4, v1
	v_cmp_gt_i64_e32 vcc, 0, v[4:5]
	v_not_b32_e32 v4, v5
	v_ashrrev_i32_e32 v4, 31, v4
	v_xor_b32_e32 v5, vcc_hi, v4
	v_xor_b32_e32 v4, vcc_lo, v4
	v_and_b32_e32 v0, v0, v5
	v_and_b32_e32 v32, v32, v4
	v_lshlrev_b32_e32 v5, 26, v31
	v_mov_b32_e32 v4, v1
	v_cmp_gt_i64_e32 vcc, 0, v[4:5]
	v_not_b32_e32 v4, v5
	v_ashrrev_i32_e32 v4, 31, v4
	v_xor_b32_e32 v5, vcc_hi, v4
	v_xor_b32_e32 v4, vcc_lo, v4
	v_and_b32_e32 v0, v0, v5
	v_and_b32_e32 v32, v32, v4
	v_lshlrev_b32_e32 v5, 25, v31
	v_mov_b32_e32 v4, v1
	v_cmp_gt_i64_e32 vcc, 0, v[4:5]
	v_not_b32_e32 v4, v5
	v_ashrrev_i32_e32 v4, 31, v4
	v_xor_b32_e32 v5, vcc_hi, v4
	v_xor_b32_e32 v4, vcc_lo, v4
	v_and_b32_e32 v0, v0, v5
	v_and_b32_e32 v32, v32, v4
	v_lshlrev_b32_e32 v5, 24, v31
	v_mov_b32_e32 v4, v1
	v_cmp_gt_i64_e32 vcc, 0, v[4:5]
	v_not_b32_e32 v4, v5
	v_ashrrev_i32_e32 v4, 31, v4
	v_xor_b32_e32 v5, vcc_hi, v4
	v_xor_b32_e32 v4, vcc_lo, v4
	ds_read_b32 v27, v28 offset:16
	v_and_b32_e32 v4, v32, v4
	v_and_b32_e32 v5, v0, v5
	v_mbcnt_lo_u32_b32 v0, v4, 0
	v_mbcnt_hi_u32_b32 v31, v5, v0
	v_cmp_eq_u32_e32 vcc, 0, v31
	v_cmp_ne_u64_e64 s[0:1], 0, v[4:5]
	s_and_b64 s[4:5], s[0:1], vcc
	; wave barrier
	s_and_saveexec_b64 s[0:1], s[4:5]
	s_cbranch_execz .LBB25_207
; %bb.206:
	v_bcnt_u32_b32 v0, v4, 0
	v_bcnt_u32_b32 v0, v5, v0
	s_waitcnt lgkmcnt(0)
	v_add_u32_e32 v0, v27, v0
	ds_write_b32 v28, v0 offset:16
.LBB25_207:
	s_or_b64 exec, exec, s[0:1]
	s_waitcnt vmcnt(10)
	v_xor_b32_e32 v30, 0x80000000, v30
	v_lshrrev_b32_e32 v0, s80, v30
	v_and_b32_e32 v36, s11, v0
	v_mul_lo_u32 v0, v36, 20
	v_lshl_add_u32 v33, v19, 2, v0
	v_and_b32_e32 v0, 1, v36
	v_lshl_add_u64 v[4:5], v[0:1], 0, -1
	v_cmp_ne_u32_e32 vcc, 0, v0
	; wave barrier
	s_nop 1
	v_xor_b32_e32 v4, vcc_lo, v4
	v_xor_b32_e32 v0, vcc_hi, v5
	v_and_b32_e32 v37, exec_lo, v4
	v_lshlrev_b32_e32 v5, 30, v36
	v_mov_b32_e32 v4, v1
	v_cmp_gt_i64_e32 vcc, 0, v[4:5]
	v_not_b32_e32 v4, v5
	v_ashrrev_i32_e32 v4, 31, v4
	v_and_b32_e32 v0, exec_hi, v0
	v_xor_b32_e32 v5, vcc_hi, v4
	v_xor_b32_e32 v4, vcc_lo, v4
	v_and_b32_e32 v0, v0, v5
	v_and_b32_e32 v37, v37, v4
	v_lshlrev_b32_e32 v5, 29, v36
	v_mov_b32_e32 v4, v1
	v_cmp_gt_i64_e32 vcc, 0, v[4:5]
	v_not_b32_e32 v4, v5
	v_ashrrev_i32_e32 v4, 31, v4
	v_xor_b32_e32 v5, vcc_hi, v4
	v_xor_b32_e32 v4, vcc_lo, v4
	v_and_b32_e32 v0, v0, v5
	v_and_b32_e32 v37, v37, v4
	v_lshlrev_b32_e32 v5, 28, v36
	v_mov_b32_e32 v4, v1
	v_cmp_gt_i64_e32 vcc, 0, v[4:5]
	v_not_b32_e32 v4, v5
	v_ashrrev_i32_e32 v4, 31, v4
	v_xor_b32_e32 v5, vcc_hi, v4
	v_xor_b32_e32 v4, vcc_lo, v4
	v_and_b32_e32 v0, v0, v5
	v_and_b32_e32 v37, v37, v4
	v_lshlrev_b32_e32 v5, 27, v36
	v_mov_b32_e32 v4, v1
	v_cmp_gt_i64_e32 vcc, 0, v[4:5]
	v_not_b32_e32 v4, v5
	v_ashrrev_i32_e32 v4, 31, v4
	v_xor_b32_e32 v5, vcc_hi, v4
	v_xor_b32_e32 v4, vcc_lo, v4
	v_and_b32_e32 v0, v0, v5
	v_and_b32_e32 v37, v37, v4
	v_lshlrev_b32_e32 v5, 26, v36
	v_mov_b32_e32 v4, v1
	v_cmp_gt_i64_e32 vcc, 0, v[4:5]
	v_not_b32_e32 v4, v5
	v_ashrrev_i32_e32 v4, 31, v4
	v_xor_b32_e32 v5, vcc_hi, v4
	v_xor_b32_e32 v4, vcc_lo, v4
	v_and_b32_e32 v0, v0, v5
	v_and_b32_e32 v37, v37, v4
	v_lshlrev_b32_e32 v5, 25, v36
	v_mov_b32_e32 v4, v1
	v_cmp_gt_i64_e32 vcc, 0, v[4:5]
	v_not_b32_e32 v4, v5
	v_ashrrev_i32_e32 v4, 31, v4
	v_xor_b32_e32 v5, vcc_hi, v4
	v_xor_b32_e32 v4, vcc_lo, v4
	v_and_b32_e32 v0, v0, v5
	v_lshlrev_b32_e32 v5, 24, v36
	v_and_b32_e32 v37, v37, v4
	v_mov_b32_e32 v4, v1
	v_not_b32_e32 v1, v5
	v_cmp_gt_i64_e32 vcc, 0, v[4:5]
	v_ashrrev_i32_e32 v1, 31, v1
	ds_read_b32 v32, v33 offset:16
	v_xor_b32_e32 v4, vcc_hi, v1
	v_xor_b32_e32 v5, vcc_lo, v1
	v_and_b32_e32 v1, v0, v4
	v_and_b32_e32 v0, v37, v5
	v_mbcnt_lo_u32_b32 v4, v0, 0
	v_mbcnt_hi_u32_b32 v36, v1, v4
	v_cmp_eq_u32_e32 vcc, 0, v36
	v_cmp_ne_u64_e64 s[0:1], 0, v[0:1]
	s_and_b64 s[4:5], s[0:1], vcc
	; wave barrier
	s_and_saveexec_b64 s[0:1], s[4:5]
	s_cbranch_execz .LBB25_209
; %bb.208:
	v_bcnt_u32_b32 v0, v0, 0
	v_bcnt_u32_b32 v0, v1, v0
	s_waitcnt lgkmcnt(0)
	v_add_u32_e32 v0, v32, v0
	ds_write_b32 v33, v0 offset:16
.LBB25_209:
	s_or_b64 exec, exec, s[0:1]
	s_waitcnt vmcnt(9)
	v_xor_b32_e32 v35, 0x80000000, v35
	v_lshrrev_b32_e32 v0, s80, v35
	v_and_b32_e32 v41, s11, v0
	v_mul_lo_u32 v0, v41, 20
	v_lshl_add_u32 v38, v19, 2, v0
	v_and_b32_e32 v0, 1, v41
	v_mov_b32_e32 v1, 0
	v_lshl_add_u64 v[4:5], v[0:1], 0, -1
	v_cmp_ne_u32_e32 vcc, 0, v0
	; wave barrier
	s_nop 1
	v_xor_b32_e32 v4, vcc_lo, v4
	v_xor_b32_e32 v0, vcc_hi, v5
	v_and_b32_e32 v42, exec_lo, v4
	v_lshlrev_b32_e32 v5, 30, v41
	v_mov_b32_e32 v4, v1
	v_cmp_gt_i64_e32 vcc, 0, v[4:5]
	v_not_b32_e32 v4, v5
	v_ashrrev_i32_e32 v4, 31, v4
	v_and_b32_e32 v0, exec_hi, v0
	v_xor_b32_e32 v5, vcc_hi, v4
	v_xor_b32_e32 v4, vcc_lo, v4
	v_and_b32_e32 v0, v0, v5
	v_and_b32_e32 v42, v42, v4
	v_lshlrev_b32_e32 v5, 29, v41
	v_mov_b32_e32 v4, v1
	v_cmp_gt_i64_e32 vcc, 0, v[4:5]
	v_not_b32_e32 v4, v5
	v_ashrrev_i32_e32 v4, 31, v4
	v_xor_b32_e32 v5, vcc_hi, v4
	v_xor_b32_e32 v4, vcc_lo, v4
	v_and_b32_e32 v0, v0, v5
	v_and_b32_e32 v42, v42, v4
	v_lshlrev_b32_e32 v5, 28, v41
	v_mov_b32_e32 v4, v1
	v_cmp_gt_i64_e32 vcc, 0, v[4:5]
	v_not_b32_e32 v4, v5
	v_ashrrev_i32_e32 v4, 31, v4
	;; [unrolled: 9-line block ×6, first 2 shown]
	v_xor_b32_e32 v5, vcc_hi, v4
	v_xor_b32_e32 v4, vcc_lo, v4
	ds_read_b32 v37, v38 offset:16
	v_and_b32_e32 v4, v42, v4
	v_and_b32_e32 v5, v0, v5
	v_mbcnt_lo_u32_b32 v0, v4, 0
	v_mbcnt_hi_u32_b32 v41, v5, v0
	v_cmp_eq_u32_e32 vcc, 0, v41
	v_cmp_ne_u64_e64 s[0:1], 0, v[4:5]
	s_and_b64 s[4:5], s[0:1], vcc
	; wave barrier
	s_and_saveexec_b64 s[0:1], s[4:5]
	s_cbranch_execz .LBB25_211
; %bb.210:
	v_bcnt_u32_b32 v0, v4, 0
	v_bcnt_u32_b32 v0, v5, v0
	s_waitcnt lgkmcnt(0)
	v_add_u32_e32 v0, v37, v0
	ds_write_b32 v38, v0 offset:16
.LBB25_211:
	s_or_b64 exec, exec, s[0:1]
	s_waitcnt vmcnt(8)
	v_xor_b32_e32 v40, 0x80000000, v40
	v_lshrrev_b32_e32 v0, s80, v40
	v_and_b32_e32 v46, s11, v0
	v_mul_lo_u32 v0, v46, 20
	v_lshl_add_u32 v43, v19, 2, v0
	v_and_b32_e32 v0, 1, v46
	v_lshl_add_u64 v[4:5], v[0:1], 0, -1
	v_cmp_ne_u32_e32 vcc, 0, v0
	; wave barrier
	s_nop 1
	v_xor_b32_e32 v4, vcc_lo, v4
	v_xor_b32_e32 v0, vcc_hi, v5
	v_and_b32_e32 v47, exec_lo, v4
	v_lshlrev_b32_e32 v5, 30, v46
	v_mov_b32_e32 v4, v1
	v_cmp_gt_i64_e32 vcc, 0, v[4:5]
	v_not_b32_e32 v4, v5
	v_ashrrev_i32_e32 v4, 31, v4
	v_and_b32_e32 v0, exec_hi, v0
	v_xor_b32_e32 v5, vcc_hi, v4
	v_xor_b32_e32 v4, vcc_lo, v4
	v_and_b32_e32 v0, v0, v5
	v_and_b32_e32 v47, v47, v4
	v_lshlrev_b32_e32 v5, 29, v46
	v_mov_b32_e32 v4, v1
	v_cmp_gt_i64_e32 vcc, 0, v[4:5]
	v_not_b32_e32 v4, v5
	v_ashrrev_i32_e32 v4, 31, v4
	v_xor_b32_e32 v5, vcc_hi, v4
	v_xor_b32_e32 v4, vcc_lo, v4
	v_and_b32_e32 v0, v0, v5
	v_and_b32_e32 v47, v47, v4
	v_lshlrev_b32_e32 v5, 28, v46
	v_mov_b32_e32 v4, v1
	v_cmp_gt_i64_e32 vcc, 0, v[4:5]
	v_not_b32_e32 v4, v5
	v_ashrrev_i32_e32 v4, 31, v4
	;; [unrolled: 9-line block ×5, first 2 shown]
	v_xor_b32_e32 v5, vcc_hi, v4
	v_xor_b32_e32 v4, vcc_lo, v4
	v_and_b32_e32 v0, v0, v5
	v_lshlrev_b32_e32 v5, 24, v46
	v_and_b32_e32 v47, v47, v4
	v_mov_b32_e32 v4, v1
	v_not_b32_e32 v1, v5
	v_cmp_gt_i64_e32 vcc, 0, v[4:5]
	v_ashrrev_i32_e32 v1, 31, v1
	ds_read_b32 v42, v43 offset:16
	v_xor_b32_e32 v4, vcc_hi, v1
	v_xor_b32_e32 v5, vcc_lo, v1
	v_and_b32_e32 v1, v0, v4
	v_and_b32_e32 v0, v47, v5
	v_mbcnt_lo_u32_b32 v4, v0, 0
	v_mbcnt_hi_u32_b32 v46, v1, v4
	v_cmp_eq_u32_e32 vcc, 0, v46
	v_cmp_ne_u64_e64 s[0:1], 0, v[0:1]
	s_and_b64 s[4:5], s[0:1], vcc
	; wave barrier
	s_and_saveexec_b64 s[0:1], s[4:5]
	s_cbranch_execz .LBB25_213
; %bb.212:
	v_bcnt_u32_b32 v0, v0, 0
	v_bcnt_u32_b32 v0, v1, v0
	s_waitcnt lgkmcnt(0)
	v_add_u32_e32 v0, v42, v0
	ds_write_b32 v43, v0 offset:16
.LBB25_213:
	s_or_b64 exec, exec, s[0:1]
	s_waitcnt vmcnt(7)
	v_xor_b32_e32 v45, 0x80000000, v45
	v_lshrrev_b32_e32 v0, s80, v45
	v_and_b32_e32 v50, s11, v0
	v_mul_lo_u32 v0, v50, 20
	v_lshl_add_u32 v48, v19, 2, v0
	v_and_b32_e32 v0, 1, v50
	v_mov_b32_e32 v1, 0
	v_lshl_add_u64 v[4:5], v[0:1], 0, -1
	v_cmp_ne_u32_e32 vcc, 0, v0
	; wave barrier
	s_nop 1
	v_xor_b32_e32 v4, vcc_lo, v4
	v_xor_b32_e32 v0, vcc_hi, v5
	v_and_b32_e32 v51, exec_lo, v4
	v_lshlrev_b32_e32 v5, 30, v50
	v_mov_b32_e32 v4, v1
	v_cmp_gt_i64_e32 vcc, 0, v[4:5]
	v_not_b32_e32 v4, v5
	v_ashrrev_i32_e32 v4, 31, v4
	v_and_b32_e32 v0, exec_hi, v0
	v_xor_b32_e32 v5, vcc_hi, v4
	v_xor_b32_e32 v4, vcc_lo, v4
	v_and_b32_e32 v0, v0, v5
	v_and_b32_e32 v51, v51, v4
	v_lshlrev_b32_e32 v5, 29, v50
	v_mov_b32_e32 v4, v1
	v_cmp_gt_i64_e32 vcc, 0, v[4:5]
	v_not_b32_e32 v4, v5
	v_ashrrev_i32_e32 v4, 31, v4
	v_xor_b32_e32 v5, vcc_hi, v4
	v_xor_b32_e32 v4, vcc_lo, v4
	v_and_b32_e32 v0, v0, v5
	v_and_b32_e32 v51, v51, v4
	v_lshlrev_b32_e32 v5, 28, v50
	v_mov_b32_e32 v4, v1
	v_cmp_gt_i64_e32 vcc, 0, v[4:5]
	v_not_b32_e32 v4, v5
	v_ashrrev_i32_e32 v4, 31, v4
	;; [unrolled: 9-line block ×6, first 2 shown]
	v_xor_b32_e32 v5, vcc_hi, v4
	v_xor_b32_e32 v4, vcc_lo, v4
	ds_read_b32 v47, v48 offset:16
	v_and_b32_e32 v4, v51, v4
	v_and_b32_e32 v5, v0, v5
	v_mbcnt_lo_u32_b32 v0, v4, 0
	v_mbcnt_hi_u32_b32 v50, v5, v0
	v_cmp_eq_u32_e32 vcc, 0, v50
	v_cmp_ne_u64_e64 s[0:1], 0, v[4:5]
	s_and_b64 s[4:5], s[0:1], vcc
	; wave barrier
	s_and_saveexec_b64 s[0:1], s[4:5]
	s_cbranch_execz .LBB25_215
; %bb.214:
	v_bcnt_u32_b32 v0, v4, 0
	v_bcnt_u32_b32 v0, v5, v0
	s_waitcnt lgkmcnt(0)
	v_add_u32_e32 v0, v47, v0
	ds_write_b32 v48, v0 offset:16
.LBB25_215:
	s_or_b64 exec, exec, s[0:1]
	s_waitcnt vmcnt(6)
	v_xor_b32_e32 v49, 0x80000000, v49
	v_lshrrev_b32_e32 v0, s80, v49
	v_and_b32_e32 v53, s11, v0
	v_mul_lo_u32 v0, v53, 20
	v_lshl_add_u32 v52, v19, 2, v0
	v_and_b32_e32 v0, 1, v53
	v_lshl_add_u64 v[4:5], v[0:1], 0, -1
	v_cmp_ne_u32_e32 vcc, 0, v0
	; wave barrier
	s_nop 1
	v_xor_b32_e32 v4, vcc_lo, v4
	v_xor_b32_e32 v0, vcc_hi, v5
	v_and_b32_e32 v54, exec_lo, v4
	v_lshlrev_b32_e32 v5, 30, v53
	v_mov_b32_e32 v4, v1
	v_cmp_gt_i64_e32 vcc, 0, v[4:5]
	v_not_b32_e32 v4, v5
	v_ashrrev_i32_e32 v4, 31, v4
	v_and_b32_e32 v0, exec_hi, v0
	v_xor_b32_e32 v5, vcc_hi, v4
	v_xor_b32_e32 v4, vcc_lo, v4
	v_and_b32_e32 v0, v0, v5
	v_and_b32_e32 v54, v54, v4
	v_lshlrev_b32_e32 v5, 29, v53
	v_mov_b32_e32 v4, v1
	v_cmp_gt_i64_e32 vcc, 0, v[4:5]
	v_not_b32_e32 v4, v5
	v_ashrrev_i32_e32 v4, 31, v4
	v_xor_b32_e32 v5, vcc_hi, v4
	v_xor_b32_e32 v4, vcc_lo, v4
	v_and_b32_e32 v0, v0, v5
	v_and_b32_e32 v54, v54, v4
	v_lshlrev_b32_e32 v5, 28, v53
	v_mov_b32_e32 v4, v1
	v_cmp_gt_i64_e32 vcc, 0, v[4:5]
	v_not_b32_e32 v4, v5
	v_ashrrev_i32_e32 v4, 31, v4
	;; [unrolled: 9-line block ×5, first 2 shown]
	v_xor_b32_e32 v5, vcc_hi, v4
	v_xor_b32_e32 v4, vcc_lo, v4
	v_and_b32_e32 v0, v0, v5
	v_lshlrev_b32_e32 v5, 24, v53
	v_and_b32_e32 v54, v54, v4
	v_mov_b32_e32 v4, v1
	v_not_b32_e32 v1, v5
	v_cmp_gt_i64_e32 vcc, 0, v[4:5]
	v_ashrrev_i32_e32 v1, 31, v1
	ds_read_b32 v51, v52 offset:16
	v_xor_b32_e32 v4, vcc_hi, v1
	v_xor_b32_e32 v5, vcc_lo, v1
	v_and_b32_e32 v1, v0, v4
	v_and_b32_e32 v0, v54, v5
	v_mbcnt_lo_u32_b32 v4, v0, 0
	v_mbcnt_hi_u32_b32 v53, v1, v4
	v_cmp_eq_u32_e32 vcc, 0, v53
	v_cmp_ne_u64_e64 s[0:1], 0, v[0:1]
	s_and_b64 s[4:5], s[0:1], vcc
	; wave barrier
	s_and_saveexec_b64 s[0:1], s[4:5]
	s_cbranch_execz .LBB25_217
; %bb.216:
	v_bcnt_u32_b32 v0, v0, 0
	v_bcnt_u32_b32 v0, v1, v0
	s_waitcnt lgkmcnt(0)
	v_add_u32_e32 v0, v51, v0
	ds_write_b32 v52, v0 offset:16
.LBB25_217:
	s_or_b64 exec, exec, s[0:1]
	s_waitcnt vmcnt(5)
	v_xor_b32_e32 v44, 0x80000000, v44
	v_lshrrev_b32_e32 v0, s80, v44
	v_and_b32_e32 v56, s11, v0
	v_mul_lo_u32 v0, v56, 20
	v_lshl_add_u32 v55, v19, 2, v0
	v_and_b32_e32 v0, 1, v56
	v_mov_b32_e32 v1, 0
	v_lshl_add_u64 v[4:5], v[0:1], 0, -1
	v_cmp_ne_u32_e32 vcc, 0, v0
	; wave barrier
	s_nop 1
	v_xor_b32_e32 v4, vcc_lo, v4
	v_xor_b32_e32 v0, vcc_hi, v5
	v_and_b32_e32 v57, exec_lo, v4
	v_lshlrev_b32_e32 v5, 30, v56
	v_mov_b32_e32 v4, v1
	v_cmp_gt_i64_e32 vcc, 0, v[4:5]
	v_not_b32_e32 v4, v5
	v_ashrrev_i32_e32 v4, 31, v4
	v_and_b32_e32 v0, exec_hi, v0
	v_xor_b32_e32 v5, vcc_hi, v4
	v_xor_b32_e32 v4, vcc_lo, v4
	v_and_b32_e32 v0, v0, v5
	v_and_b32_e32 v57, v57, v4
	v_lshlrev_b32_e32 v5, 29, v56
	v_mov_b32_e32 v4, v1
	v_cmp_gt_i64_e32 vcc, 0, v[4:5]
	v_not_b32_e32 v4, v5
	v_ashrrev_i32_e32 v4, 31, v4
	v_xor_b32_e32 v5, vcc_hi, v4
	v_xor_b32_e32 v4, vcc_lo, v4
	v_and_b32_e32 v0, v0, v5
	v_and_b32_e32 v57, v57, v4
	v_lshlrev_b32_e32 v5, 28, v56
	v_mov_b32_e32 v4, v1
	v_cmp_gt_i64_e32 vcc, 0, v[4:5]
	v_not_b32_e32 v4, v5
	v_ashrrev_i32_e32 v4, 31, v4
	v_xor_b32_e32 v5, vcc_hi, v4
	v_xor_b32_e32 v4, vcc_lo, v4
	v_and_b32_e32 v0, v0, v5
	v_and_b32_e32 v57, v57, v4
	v_lshlrev_b32_e32 v5, 27, v56
	v_mov_b32_e32 v4, v1
	v_cmp_gt_i64_e32 vcc, 0, v[4:5]
	v_not_b32_e32 v4, v5
	v_ashrrev_i32_e32 v4, 31, v4
	v_xor_b32_e32 v5, vcc_hi, v4
	v_xor_b32_e32 v4, vcc_lo, v4
	v_and_b32_e32 v0, v0, v5
	v_and_b32_e32 v57, v57, v4
	v_lshlrev_b32_e32 v5, 26, v56
	v_mov_b32_e32 v4, v1
	v_cmp_gt_i64_e32 vcc, 0, v[4:5]
	v_not_b32_e32 v4, v5
	v_ashrrev_i32_e32 v4, 31, v4
	v_xor_b32_e32 v5, vcc_hi, v4
	v_xor_b32_e32 v4, vcc_lo, v4
	v_and_b32_e32 v0, v0, v5
	v_and_b32_e32 v57, v57, v4
	v_lshlrev_b32_e32 v5, 25, v56
	v_mov_b32_e32 v4, v1
	v_cmp_gt_i64_e32 vcc, 0, v[4:5]
	v_not_b32_e32 v4, v5
	v_ashrrev_i32_e32 v4, 31, v4
	v_xor_b32_e32 v5, vcc_hi, v4
	v_xor_b32_e32 v4, vcc_lo, v4
	v_and_b32_e32 v0, v0, v5
	v_and_b32_e32 v57, v57, v4
	v_lshlrev_b32_e32 v5, 24, v56
	v_mov_b32_e32 v4, v1
	v_cmp_gt_i64_e32 vcc, 0, v[4:5]
	v_not_b32_e32 v4, v5
	v_ashrrev_i32_e32 v4, 31, v4
	v_xor_b32_e32 v5, vcc_hi, v4
	v_xor_b32_e32 v4, vcc_lo, v4
	ds_read_b32 v54, v55 offset:16
	v_and_b32_e32 v4, v57, v4
	v_and_b32_e32 v5, v0, v5
	v_mbcnt_lo_u32_b32 v0, v4, 0
	v_mbcnt_hi_u32_b32 v56, v5, v0
	v_cmp_eq_u32_e32 vcc, 0, v56
	v_cmp_ne_u64_e64 s[0:1], 0, v[4:5]
	s_and_b64 s[4:5], s[0:1], vcc
	; wave barrier
	s_and_saveexec_b64 s[0:1], s[4:5]
	s_cbranch_execz .LBB25_219
; %bb.218:
	v_bcnt_u32_b32 v0, v4, 0
	v_bcnt_u32_b32 v0, v5, v0
	s_waitcnt lgkmcnt(0)
	v_add_u32_e32 v0, v54, v0
	ds_write_b32 v55, v0 offset:16
.LBB25_219:
	s_or_b64 exec, exec, s[0:1]
	s_waitcnt vmcnt(4)
	v_xor_b32_e32 v39, 0x80000000, v39
	v_lshrrev_b32_e32 v0, s80, v39
	v_and_b32_e32 v59, s11, v0
	v_mul_lo_u32 v0, v59, 20
	v_lshl_add_u32 v58, v19, 2, v0
	v_and_b32_e32 v0, 1, v59
	v_lshl_add_u64 v[4:5], v[0:1], 0, -1
	v_cmp_ne_u32_e32 vcc, 0, v0
	; wave barrier
	s_nop 1
	v_xor_b32_e32 v4, vcc_lo, v4
	v_xor_b32_e32 v0, vcc_hi, v5
	v_and_b32_e32 v60, exec_lo, v4
	v_lshlrev_b32_e32 v5, 30, v59
	v_mov_b32_e32 v4, v1
	v_cmp_gt_i64_e32 vcc, 0, v[4:5]
	v_not_b32_e32 v4, v5
	v_ashrrev_i32_e32 v4, 31, v4
	v_and_b32_e32 v0, exec_hi, v0
	v_xor_b32_e32 v5, vcc_hi, v4
	v_xor_b32_e32 v4, vcc_lo, v4
	v_and_b32_e32 v0, v0, v5
	v_and_b32_e32 v60, v60, v4
	v_lshlrev_b32_e32 v5, 29, v59
	v_mov_b32_e32 v4, v1
	v_cmp_gt_i64_e32 vcc, 0, v[4:5]
	v_not_b32_e32 v4, v5
	v_ashrrev_i32_e32 v4, 31, v4
	v_xor_b32_e32 v5, vcc_hi, v4
	v_xor_b32_e32 v4, vcc_lo, v4
	v_and_b32_e32 v0, v0, v5
	v_and_b32_e32 v60, v60, v4
	v_lshlrev_b32_e32 v5, 28, v59
	v_mov_b32_e32 v4, v1
	v_cmp_gt_i64_e32 vcc, 0, v[4:5]
	v_not_b32_e32 v4, v5
	v_ashrrev_i32_e32 v4, 31, v4
	v_xor_b32_e32 v5, vcc_hi, v4
	v_xor_b32_e32 v4, vcc_lo, v4
	v_and_b32_e32 v0, v0, v5
	v_and_b32_e32 v60, v60, v4
	v_lshlrev_b32_e32 v5, 27, v59
	v_mov_b32_e32 v4, v1
	v_cmp_gt_i64_e32 vcc, 0, v[4:5]
	v_not_b32_e32 v4, v5
	v_ashrrev_i32_e32 v4, 31, v4
	v_xor_b32_e32 v5, vcc_hi, v4
	v_xor_b32_e32 v4, vcc_lo, v4
	v_and_b32_e32 v0, v0, v5
	v_and_b32_e32 v60, v60, v4
	v_lshlrev_b32_e32 v5, 26, v59
	v_mov_b32_e32 v4, v1
	v_cmp_gt_i64_e32 vcc, 0, v[4:5]
	v_not_b32_e32 v4, v5
	v_ashrrev_i32_e32 v4, 31, v4
	v_xor_b32_e32 v5, vcc_hi, v4
	v_xor_b32_e32 v4, vcc_lo, v4
	v_and_b32_e32 v0, v0, v5
	v_and_b32_e32 v60, v60, v4
	v_lshlrev_b32_e32 v5, 25, v59
	v_mov_b32_e32 v4, v1
	v_cmp_gt_i64_e32 vcc, 0, v[4:5]
	v_not_b32_e32 v4, v5
	v_ashrrev_i32_e32 v4, 31, v4
	v_xor_b32_e32 v5, vcc_hi, v4
	v_xor_b32_e32 v4, vcc_lo, v4
	v_and_b32_e32 v0, v0, v5
	v_lshlrev_b32_e32 v5, 24, v59
	v_and_b32_e32 v60, v60, v4
	v_mov_b32_e32 v4, v1
	v_not_b32_e32 v1, v5
	v_cmp_gt_i64_e32 vcc, 0, v[4:5]
	v_ashrrev_i32_e32 v1, 31, v1
	ds_read_b32 v57, v58 offset:16
	v_xor_b32_e32 v4, vcc_hi, v1
	v_xor_b32_e32 v5, vcc_lo, v1
	v_and_b32_e32 v1, v0, v4
	v_and_b32_e32 v0, v60, v5
	v_mbcnt_lo_u32_b32 v4, v0, 0
	v_mbcnt_hi_u32_b32 v59, v1, v4
	v_cmp_eq_u32_e32 vcc, 0, v59
	v_cmp_ne_u64_e64 s[0:1], 0, v[0:1]
	s_and_b64 s[4:5], s[0:1], vcc
	; wave barrier
	s_and_saveexec_b64 s[0:1], s[4:5]
	s_cbranch_execz .LBB25_221
; %bb.220:
	v_bcnt_u32_b32 v0, v0, 0
	v_bcnt_u32_b32 v0, v1, v0
	s_waitcnt lgkmcnt(0)
	v_add_u32_e32 v0, v57, v0
	ds_write_b32 v58, v0 offset:16
.LBB25_221:
	s_or_b64 exec, exec, s[0:1]
	s_waitcnt vmcnt(3)
	v_xor_b32_e32 v34, 0x80000000, v34
	v_lshrrev_b32_e32 v0, s80, v34
	v_and_b32_e32 v62, s11, v0
	v_mul_lo_u32 v0, v62, 20
	v_lshl_add_u32 v61, v19, 2, v0
	v_and_b32_e32 v0, 1, v62
	v_mov_b32_e32 v1, 0
	v_lshl_add_u64 v[4:5], v[0:1], 0, -1
	v_cmp_ne_u32_e32 vcc, 0, v0
	; wave barrier
	s_nop 1
	v_xor_b32_e32 v4, vcc_lo, v4
	v_xor_b32_e32 v0, vcc_hi, v5
	v_and_b32_e32 v63, exec_lo, v4
	v_lshlrev_b32_e32 v5, 30, v62
	v_mov_b32_e32 v4, v1
	v_cmp_gt_i64_e32 vcc, 0, v[4:5]
	v_not_b32_e32 v4, v5
	v_ashrrev_i32_e32 v4, 31, v4
	v_and_b32_e32 v0, exec_hi, v0
	v_xor_b32_e32 v5, vcc_hi, v4
	v_xor_b32_e32 v4, vcc_lo, v4
	v_and_b32_e32 v0, v0, v5
	v_and_b32_e32 v63, v63, v4
	v_lshlrev_b32_e32 v5, 29, v62
	v_mov_b32_e32 v4, v1
	v_cmp_gt_i64_e32 vcc, 0, v[4:5]
	v_not_b32_e32 v4, v5
	v_ashrrev_i32_e32 v4, 31, v4
	v_xor_b32_e32 v5, vcc_hi, v4
	v_xor_b32_e32 v4, vcc_lo, v4
	v_and_b32_e32 v0, v0, v5
	v_and_b32_e32 v63, v63, v4
	v_lshlrev_b32_e32 v5, 28, v62
	v_mov_b32_e32 v4, v1
	v_cmp_gt_i64_e32 vcc, 0, v[4:5]
	v_not_b32_e32 v4, v5
	v_ashrrev_i32_e32 v4, 31, v4
	;; [unrolled: 9-line block ×6, first 2 shown]
	v_xor_b32_e32 v5, vcc_hi, v4
	v_xor_b32_e32 v4, vcc_lo, v4
	ds_read_b32 v60, v61 offset:16
	v_and_b32_e32 v4, v63, v4
	v_and_b32_e32 v5, v0, v5
	v_mbcnt_lo_u32_b32 v0, v4, 0
	v_mbcnt_hi_u32_b32 v62, v5, v0
	v_cmp_eq_u32_e32 vcc, 0, v62
	v_cmp_ne_u64_e64 s[0:1], 0, v[4:5]
	s_and_b64 s[4:5], s[0:1], vcc
	; wave barrier
	s_and_saveexec_b64 s[0:1], s[4:5]
	s_cbranch_execz .LBB25_223
; %bb.222:
	v_bcnt_u32_b32 v0, v4, 0
	v_bcnt_u32_b32 v0, v5, v0
	s_waitcnt lgkmcnt(0)
	v_add_u32_e32 v0, v60, v0
	ds_write_b32 v61, v0 offset:16
.LBB25_223:
	s_or_b64 exec, exec, s[0:1]
	s_waitcnt vmcnt(2)
	v_xor_b32_e32 v29, 0x80000000, v29
	v_lshrrev_b32_e32 v0, s80, v29
	v_and_b32_e32 v65, s11, v0
	v_mul_lo_u32 v0, v65, 20
	v_lshl_add_u32 v64, v19, 2, v0
	v_and_b32_e32 v0, 1, v65
	v_lshl_add_u64 v[4:5], v[0:1], 0, -1
	v_cmp_ne_u32_e32 vcc, 0, v0
	; wave barrier
	s_nop 1
	v_xor_b32_e32 v4, vcc_lo, v4
	v_xor_b32_e32 v0, vcc_hi, v5
	v_and_b32_e32 v66, exec_lo, v4
	v_lshlrev_b32_e32 v5, 30, v65
	v_mov_b32_e32 v4, v1
	v_cmp_gt_i64_e32 vcc, 0, v[4:5]
	v_not_b32_e32 v4, v5
	v_ashrrev_i32_e32 v4, 31, v4
	v_and_b32_e32 v0, exec_hi, v0
	v_xor_b32_e32 v5, vcc_hi, v4
	v_xor_b32_e32 v4, vcc_lo, v4
	v_and_b32_e32 v0, v0, v5
	v_and_b32_e32 v66, v66, v4
	v_lshlrev_b32_e32 v5, 29, v65
	v_mov_b32_e32 v4, v1
	v_cmp_gt_i64_e32 vcc, 0, v[4:5]
	v_not_b32_e32 v4, v5
	v_ashrrev_i32_e32 v4, 31, v4
	v_xor_b32_e32 v5, vcc_hi, v4
	v_xor_b32_e32 v4, vcc_lo, v4
	v_and_b32_e32 v0, v0, v5
	v_and_b32_e32 v66, v66, v4
	v_lshlrev_b32_e32 v5, 28, v65
	v_mov_b32_e32 v4, v1
	v_cmp_gt_i64_e32 vcc, 0, v[4:5]
	v_not_b32_e32 v4, v5
	v_ashrrev_i32_e32 v4, 31, v4
	;; [unrolled: 9-line block ×5, first 2 shown]
	v_xor_b32_e32 v5, vcc_hi, v4
	v_xor_b32_e32 v4, vcc_lo, v4
	v_and_b32_e32 v0, v0, v5
	v_lshlrev_b32_e32 v5, 24, v65
	v_and_b32_e32 v66, v66, v4
	v_mov_b32_e32 v4, v1
	v_not_b32_e32 v1, v5
	v_cmp_gt_i64_e32 vcc, 0, v[4:5]
	v_ashrrev_i32_e32 v1, 31, v1
	ds_read_b32 v63, v64 offset:16
	v_xor_b32_e32 v4, vcc_hi, v1
	v_xor_b32_e32 v5, vcc_lo, v1
	v_and_b32_e32 v1, v0, v4
	v_and_b32_e32 v0, v66, v5
	v_mbcnt_lo_u32_b32 v4, v0, 0
	v_mbcnt_hi_u32_b32 v66, v1, v4
	v_cmp_eq_u32_e32 vcc, 0, v66
	v_cmp_ne_u64_e64 s[0:1], 0, v[0:1]
	s_and_b64 s[4:5], s[0:1], vcc
	; wave barrier
	s_and_saveexec_b64 s[0:1], s[4:5]
	s_cbranch_execz .LBB25_225
; %bb.224:
	v_bcnt_u32_b32 v0, v0, 0
	v_bcnt_u32_b32 v0, v1, v0
	s_waitcnt lgkmcnt(0)
	v_add_u32_e32 v0, v63, v0
	ds_write_b32 v64, v0 offset:16
.LBB25_225:
	s_or_b64 exec, exec, s[0:1]
	s_waitcnt vmcnt(1)
	v_xor_b32_e32 v65, 0x80000000, v24
	v_lshrrev_b32_e32 v0, s80, v65
	v_and_b32_e32 v68, s11, v0
	v_mul_lo_u32 v0, v68, 20
	v_lshl_add_u32 v24, v19, 2, v0
	v_and_b32_e32 v0, 1, v68
	v_mov_b32_e32 v1, 0
	v_lshl_add_u64 v[4:5], v[0:1], 0, -1
	v_cmp_ne_u32_e32 vcc, 0, v0
	; wave barrier
	s_nop 1
	v_xor_b32_e32 v4, vcc_lo, v4
	v_xor_b32_e32 v0, vcc_hi, v5
	v_and_b32_e32 v69, exec_lo, v4
	v_lshlrev_b32_e32 v5, 30, v68
	v_mov_b32_e32 v4, v1
	v_cmp_gt_i64_e32 vcc, 0, v[4:5]
	v_not_b32_e32 v4, v5
	v_ashrrev_i32_e32 v4, 31, v4
	v_and_b32_e32 v0, exec_hi, v0
	v_xor_b32_e32 v5, vcc_hi, v4
	v_xor_b32_e32 v4, vcc_lo, v4
	v_and_b32_e32 v0, v0, v5
	v_and_b32_e32 v69, v69, v4
	v_lshlrev_b32_e32 v5, 29, v68
	v_mov_b32_e32 v4, v1
	v_cmp_gt_i64_e32 vcc, 0, v[4:5]
	v_not_b32_e32 v4, v5
	v_ashrrev_i32_e32 v4, 31, v4
	v_xor_b32_e32 v5, vcc_hi, v4
	v_xor_b32_e32 v4, vcc_lo, v4
	v_and_b32_e32 v0, v0, v5
	v_and_b32_e32 v69, v69, v4
	v_lshlrev_b32_e32 v5, 28, v68
	v_mov_b32_e32 v4, v1
	v_cmp_gt_i64_e32 vcc, 0, v[4:5]
	v_not_b32_e32 v4, v5
	v_ashrrev_i32_e32 v4, 31, v4
	;; [unrolled: 9-line block ×6, first 2 shown]
	v_xor_b32_e32 v5, vcc_hi, v4
	v_xor_b32_e32 v4, vcc_lo, v4
	ds_read_b32 v67, v24 offset:16
	v_and_b32_e32 v4, v69, v4
	v_and_b32_e32 v5, v0, v5
	v_mbcnt_lo_u32_b32 v0, v4, 0
	v_mbcnt_hi_u32_b32 v69, v5, v0
	v_cmp_eq_u32_e32 vcc, 0, v69
	v_cmp_ne_u64_e64 s[0:1], 0, v[4:5]
	s_and_b64 s[4:5], s[0:1], vcc
	; wave barrier
	s_and_saveexec_b64 s[0:1], s[4:5]
	s_cbranch_execz .LBB25_227
; %bb.226:
	v_bcnt_u32_b32 v0, v4, 0
	v_bcnt_u32_b32 v0, v5, v0
	s_waitcnt lgkmcnt(0)
	v_add_u32_e32 v0, v67, v0
	ds_write_b32 v24, v0 offset:16
.LBB25_227:
	s_or_b64 exec, exec, s[0:1]
	s_waitcnt vmcnt(0)
	v_xor_b32_e32 v68, 0x80000000, v6
	v_lshrrev_b32_e32 v0, s80, v68
	v_and_b32_e32 v6, s11, v0
	v_mul_lo_u32 v0, v6, 20
	v_lshl_add_u32 v19, v19, 2, v0
	v_and_b32_e32 v0, 1, v6
	v_lshl_add_u64 v[4:5], v[0:1], 0, -1
	v_cmp_ne_u32_e32 vcc, 0, v0
	; wave barrier
	s_nop 1
	v_xor_b32_e32 v4, vcc_lo, v4
	v_xor_b32_e32 v0, vcc_hi, v5
	v_and_b32_e32 v71, exec_lo, v4
	v_lshlrev_b32_e32 v5, 30, v6
	v_mov_b32_e32 v4, v1
	v_cmp_gt_i64_e32 vcc, 0, v[4:5]
	v_not_b32_e32 v4, v5
	v_ashrrev_i32_e32 v4, 31, v4
	v_and_b32_e32 v0, exec_hi, v0
	v_xor_b32_e32 v5, vcc_hi, v4
	v_xor_b32_e32 v4, vcc_lo, v4
	v_and_b32_e32 v0, v0, v5
	v_and_b32_e32 v71, v71, v4
	v_lshlrev_b32_e32 v5, 29, v6
	v_mov_b32_e32 v4, v1
	v_cmp_gt_i64_e32 vcc, 0, v[4:5]
	v_not_b32_e32 v4, v5
	v_ashrrev_i32_e32 v4, 31, v4
	v_xor_b32_e32 v5, vcc_hi, v4
	v_xor_b32_e32 v4, vcc_lo, v4
	v_and_b32_e32 v0, v0, v5
	v_and_b32_e32 v71, v71, v4
	v_lshlrev_b32_e32 v5, 28, v6
	v_mov_b32_e32 v4, v1
	v_cmp_gt_i64_e32 vcc, 0, v[4:5]
	v_not_b32_e32 v4, v5
	v_ashrrev_i32_e32 v4, 31, v4
	;; [unrolled: 9-line block ×5, first 2 shown]
	v_xor_b32_e32 v5, vcc_hi, v4
	v_xor_b32_e32 v4, vcc_lo, v4
	v_and_b32_e32 v0, v0, v5
	v_lshlrev_b32_e32 v5, 24, v6
	v_and_b32_e32 v71, v71, v4
	v_mov_b32_e32 v4, v1
	v_not_b32_e32 v1, v5
	v_cmp_gt_i64_e32 vcc, 0, v[4:5]
	v_ashrrev_i32_e32 v1, 31, v1
	ds_read_b32 v70, v19 offset:16
	v_xor_b32_e32 v4, vcc_hi, v1
	v_xor_b32_e32 v5, vcc_lo, v1
	v_and_b32_e32 v1, v0, v4
	v_and_b32_e32 v0, v71, v5
	v_mbcnt_lo_u32_b32 v4, v0, 0
	v_mbcnt_hi_u32_b32 v71, v1, v4
	v_cmp_eq_u32_e32 vcc, 0, v71
	v_cmp_ne_u64_e64 s[0:1], 0, v[0:1]
	s_and_b64 s[4:5], s[0:1], vcc
	; wave barrier
	s_and_saveexec_b64 s[0:1], s[4:5]
	s_cbranch_execz .LBB25_229
; %bb.228:
	v_bcnt_u32_b32 v0, v0, 0
	v_bcnt_u32_b32 v0, v1, v0
	s_waitcnt lgkmcnt(0)
	v_add_u32_e32 v0, v70, v0
	ds_write_b32 v19, v0 offset:16
.LBB25_229:
	s_or_b64 exec, exec, s[0:1]
	; wave barrier
	s_waitcnt lgkmcnt(0)
	s_barrier
	ds_read2_b32 v[4:5], v7 offset0:4 offset1:5
	ds_read2_b32 v[0:1], v7 offset0:6 offset1:7
	ds_read_b32 v6, v7 offset:32
	s_waitcnt lgkmcnt(1)
	v_add3_u32 v72, v5, v4, v0
	s_waitcnt lgkmcnt(0)
	v_add3_u32 v6, v72, v1, v6
	v_and_b32_e32 v72, 15, v14
	v_cmp_ne_u32_e32 vcc, 0, v72
	v_mov_b32_dpp v73, v6 row_shr:1 row_mask:0xf bank_mask:0xf
	s_nop 0
	v_cndmask_b32_e32 v73, 0, v73, vcc
	v_add_u32_e32 v6, v73, v6
	v_cmp_lt_u32_e32 vcc, 1, v72
	s_nop 0
	v_mov_b32_dpp v73, v6 row_shr:2 row_mask:0xf bank_mask:0xf
	v_cndmask_b32_e32 v73, 0, v73, vcc
	v_add_u32_e32 v6, v6, v73
	v_cmp_lt_u32_e32 vcc, 3, v72
	s_nop 0
	v_mov_b32_dpp v73, v6 row_shr:4 row_mask:0xf bank_mask:0xf
	;; [unrolled: 5-line block ×3, first 2 shown]
	v_cndmask_b32_e32 v72, 0, v73, vcc
	v_add_u32_e32 v6, v6, v72
	v_bfe_i32 v73, v14, 4, 1
	v_cmp_lt_u32_e32 vcc, 31, v14
	v_mov_b32_dpp v72, v6 row_bcast:15 row_mask:0xf bank_mask:0xf
	v_and_b32_e32 v72, v73, v72
	v_add_u32_e32 v6, v6, v72
	v_lshrrev_b32_e32 v73, 6, v2
	s_nop 0
	v_mov_b32_dpp v72, v6 row_bcast:31 row_mask:0xf bank_mask:0xf
	v_cndmask_b32_e32 v72, 0, v72, vcc
	v_add_u32_e32 v72, v6, v72
	v_and_b32_e32 v6, 0x3c0, v2
	v_min_u32_e32 v6, 0xc0, v6
	v_or_b32_e32 v6, 63, v6
	v_cmp_eq_u32_e32 vcc, v2, v6
	s_and_saveexec_b64 s[0:1], vcc
; %bb.230:
	v_lshlrev_b32_e32 v6, 2, v73
	ds_write_b32 v6, v72
; %bb.231:
	s_or_b64 exec, exec, s[0:1]
	v_cmp_gt_u32_e32 vcc, 4, v2
	v_lshlrev_b32_e32 v6, 2, v2
	s_waitcnt lgkmcnt(0)
	s_barrier
	s_and_saveexec_b64 s[0:1], vcc
	s_cbranch_execz .LBB25_233
; %bb.232:
	ds_read_b32 v74, v6
	v_and_b32_e32 v75, 3, v14
	v_cmp_ne_u32_e32 vcc, 0, v75
	s_waitcnt lgkmcnt(0)
	v_mov_b32_dpp v76, v74 row_shr:1 row_mask:0xf bank_mask:0xf
	v_cndmask_b32_e32 v76, 0, v76, vcc
	v_add_u32_e32 v74, v76, v74
	v_cmp_lt_u32_e32 vcc, 1, v75
	s_nop 0
	v_mov_b32_dpp v76, v74 row_shr:2 row_mask:0xf bank_mask:0xf
	v_cndmask_b32_e32 v75, 0, v76, vcc
	v_add_u32_e32 v74, v74, v75
	ds_write_b32 v6, v74
.LBB25_233:
	s_or_b64 exec, exec, s[0:1]
	v_cmp_lt_u32_e32 vcc, 63, v2
	v_mov_b32_e32 v74, 0
	s_waitcnt lgkmcnt(0)
	s_barrier
	s_and_saveexec_b64 s[0:1], vcc
; %bb.234:
	v_lshl_add_u32 v73, v73, 2, -4
	ds_read_b32 v74, v73
; %bb.235:
	s_or_b64 exec, exec, s[0:1]
	v_add_u32_e32 v73, -1, v14
	v_and_b32_e32 v75, 64, v14
	v_cmp_lt_i32_e32 vcc, v73, v75
	s_waitcnt lgkmcnt(0)
	v_add_u32_e32 v72, v74, v72
	s_movk_i32 s0, 0x100
	v_cndmask_b32_e32 v73, v73, v14, vcc
	v_lshlrev_b32_e32 v73, 2, v73
	ds_bpermute_b32 v72, v73, v72
	v_cmp_eq_u32_e32 vcc, 0, v14
	s_waitcnt lgkmcnt(0)
	s_nop 0
	v_cndmask_b32_e32 v72, v72, v74, vcc
	v_cmp_ne_u32_e32 vcc, 0, v2
	s_nop 1
	v_cndmask_b32_e32 v72, 0, v72, vcc
	v_add_u32_e32 v4, v72, v4
	v_add_u32_e32 v5, v4, v5
	v_add_u32_e32 v0, v5, v0
	v_add_u32_e32 v1, v0, v1
	ds_write2_b32 v7, v72, v4 offset0:4 offset1:5
	ds_write2_b32 v7, v5, v0 offset0:6 offset1:7
	ds_write_b32 v7, v1 offset:32
	s_waitcnt lgkmcnt(0)
	s_barrier
	ds_read_b32 v4, v43 offset:16
	ds_read_b32 v5, v48 offset:16
	;; [unrolled: 1-line block ×17, first 2 shown]
	v_add_u32_e32 v7, 1, v2
	v_cmp_ne_u32_e32 vcc, s0, v7
	v_mov_b32_e32 v1, 0x1000
	s_and_saveexec_b64 s[0:1], vcc
; %bb.236:
	v_mul_u32_u24_e32 v1, 20, v7
	ds_read_b32 v1, v1 offset:16
; %bb.237:
	s_or_b64 exec, exec, s[0:1]
	s_waitcnt lgkmcnt(7)
	v_add_u32_e32 v48, v9, v11
	s_waitcnt lgkmcnt(6)
	v_add3_u32 v43, v16, v12, v13
	s_waitcnt lgkmcnt(3)
	v_add3_u32 v28, v31, v27, v23
	s_waitcnt lgkmcnt(2)
	v_add3_u32 v27, v36, v32, v24
	v_add3_u32 v24, v46, v42, v4
	v_lshlrev_b32_e32 v4, 2, v48
	v_add3_u32 v38, v21, v17, v18
	s_waitcnt lgkmcnt(0)
	s_barrier
	ds_write_b32 v4, v8 offset:2048
	v_lshlrev_b32_e32 v4, 2, v43
	v_add3_u32 v33, v26, v22, v19
	ds_write_b32 v4, v10 offset:2048
	v_lshlrev_b32_e32 v4, 2, v38
	ds_write_b32 v4, v15 offset:2048
	v_lshlrev_b32_e32 v4, 2, v33
	;; [unrolled: 2-line block ×3, first 2 shown]
	v_add3_u32 v26, v41, v37, v74
	ds_write_b32 v4, v25 offset:2048
	v_lshlrev_b32_e32 v4, 2, v27
	ds_write_b32 v4, v30 offset:2048
	v_lshlrev_b32_e32 v4, 2, v26
	v_add3_u32 v23, v50, v47, v5
	ds_write_b32 v4, v35 offset:2048
	v_lshlrev_b32_e32 v4, 2, v24
	v_add3_u32 v22, v53, v51, v52
	;; [unrolled: 3-line block ×8, first 2 shown]
	ds_write_b32 v4, v29 offset:2048
	v_lshlrev_b32_e32 v4, 2, v16
	ds_write_b32 v4, v65 offset:2048
	v_lshlrev_b32_e32 v4, 2, v5
	ds_write_b32 v4, v68 offset:2048
	v_sub_u32_e32 v4, v1, v0
	v_lshl_add_u32 v10, s2, 8, v2
	v_mov_b32_e32 v11, 0
	v_lshl_add_u64 v[8:9], v[10:11], 2, s[84:85]
	v_or_b32_e32 v1, 2.0, v4
	s_mov_b64 s[0:1], 0
	s_brev_b32 s12, -4
	v_mov_b32_e32 v7, 0
	s_waitcnt lgkmcnt(0)
	s_barrier
	global_store_dword v[8:9], v1, off sc1
                                        ; implicit-def: $sgpr4_sgpr5
	s_branch .LBB25_240
.LBB25_238:                             ;   in Loop: Header=BB25_240 Depth=1
	s_or_b64 exec, exec, s[6:7]
.LBB25_239:                             ;   in Loop: Header=BB25_240 Depth=1
	s_or_b64 exec, exec, s[4:5]
	v_and_b32_e32 v10, 0x3fffffff, v1
	v_add_u32_e32 v7, v10, v7
	v_cmp_gt_i32_e64 s[4:5], -2.0, v1
	s_and_b64 s[6:7], exec, s[4:5]
	s_or_b64 s[0:1], s[6:7], s[0:1]
	s_andn2_b64 exec, exec, s[0:1]
	s_cbranch_execz .LBB25_245
.LBB25_240:                             ; =>This Loop Header: Depth=1
                                        ;     Child Loop BB25_243 Depth 2
	s_or_b64 s[4:5], s[4:5], exec
	s_cmp_eq_u32 s3, 0
	s_cbranch_scc1 .LBB25_244
; %bb.241:                              ;   in Loop: Header=BB25_240 Depth=1
	s_add_i32 s3, s3, -1
	v_lshl_add_u32 v10, s3, 8, v2
	v_lshl_add_u64 v[12:13], v[10:11], 2, s[84:85]
	global_load_dword v1, v[12:13], off sc1
	s_waitcnt vmcnt(0)
	v_cmp_gt_u32_e32 vcc, 2.0, v1
	s_and_saveexec_b64 s[4:5], vcc
	s_cbranch_execz .LBB25_239
; %bb.242:                              ;   in Loop: Header=BB25_240 Depth=1
	s_mov_b64 s[6:7], 0
.LBB25_243:                             ;   Parent Loop BB25_240 Depth=1
                                        ; =>  This Inner Loop Header: Depth=2
	global_load_dword v1, v[12:13], off sc1
	s_waitcnt vmcnt(0)
	v_cmp_lt_u32_e32 vcc, s12, v1
	s_or_b64 s[6:7], vcc, s[6:7]
	s_andn2_b64 exec, exec, s[6:7]
	s_cbranch_execnz .LBB25_243
	s_branch .LBB25_238
.LBB25_244:                             ;   in Loop: Header=BB25_240 Depth=1
                                        ; implicit-def: $sgpr3
	s_and_b64 s[6:7], exec, s[4:5]
	s_or_b64 s[0:1], s[6:7], s[0:1]
	s_andn2_b64 exec, exec, s[0:1]
	s_cbranch_execnz .LBB25_240
.LBB25_245:
	s_or_b64 exec, exec, s[0:1]
	v_add_u32_e32 v1, v7, v4
	v_or_b32_e32 v1, 0x80000000, v1
	v_lshlrev_b32_e32 v10, 3, v2
	global_store_dword v[8:9], v1, off sc1
	global_load_dwordx2 v[8:9], v10, s[76:77]
	v_sub_co_u32_e32 v12, vcc, v7, v0
	v_sub_u32_e32 v15, v10, v6
	s_nop 0
	v_subb_co_u32_e64 v13, s[0:1], 0, 0, vcc
	v_mov_b32_e32 v1, 0
	v_mov_b32_e32 v7, v1
	v_or_b32_e32 v30, 0x1000, v6
	v_add_u32_e32 v34, 0x1400, v6
	v_add_u32_e32 v36, 0x1800, v6
	;; [unrolled: 1-line block ×3, first 2 shown]
	v_mov_b32_e32 v31, v1
	v_mov_b32_e32 v35, v1
	;; [unrolled: 1-line block ×4, first 2 shown]
	v_or_b32_e32 v11, 0x800, v2
	s_lshl_b64 s[0:1], s[8:9], 1
	s_add_u32 s0, s72, s0
	s_addc_u32 s1, s73, s1
	s_add_i32 s10, s10, -1
	s_cmp_lg_u32 s2, s10
	s_waitcnt vmcnt(0)
	v_lshl_add_u64 v[8:9], v[12:13], 0, v[8:9]
	ds_write_b64 v10, v[8:9]
	s_waitcnt lgkmcnt(0)
	s_barrier
	ds_read2st64_b32 v[8:9], v15 offset0:8 offset1:12
	ds_read2st64_b32 v[12:13], v15 offset0:16 offset1:20
	;; [unrolled: 1-line block ×6, first 2 shown]
	s_waitcnt lgkmcnt(5)
	v_lshrrev_b32_e32 v20, s80, v8
	v_xor_b32_e32 v25, 0x80000000, v8
	v_lshrrev_b32_e32 v8, s80, v9
	v_xor_b32_e32 v29, 0x80000000, v9
	s_waitcnt lgkmcnt(4)
	v_lshrrev_b32_e32 v9, s80, v12
	v_xor_b32_e32 v32, 0x80000000, v12
	v_lshrrev_b32_e32 v12, s80, v13
	v_xor_b32_e32 v39, 0x80000000, v13
	s_waitcnt lgkmcnt(3)
	v_lshrrev_b32_e32 v13, s80, v44
	v_xor_b32_e32 v42, 0x80000000, v44
	v_lshrrev_b32_e32 v44, s80, v45
	v_xor_b32_e32 v49, 0x80000000, v45
	s_waitcnt lgkmcnt(2)
	v_lshrrev_b32_e32 v45, s80, v46
	v_xor_b32_e32 v62, 0x80000000, v46
	v_lshrrev_b32_e32 v46, s80, v47
	v_xor_b32_e32 v63, 0x80000000, v47
	s_waitcnt lgkmcnt(1)
	v_lshrrev_b32_e32 v47, s80, v50
	v_and_b32_e32 v20, s11, v20
	v_and_b32_e32 v8, s11, v8
	;; [unrolled: 1-line block ×9, first 2 shown]
	v_lshlrev_b32_e32 v20, 3, v20
	v_lshlrev_b32_e32 v64, 3, v8
	;; [unrolled: 1-line block ×9, first 2 shown]
	ds_read_b64 v[8:9], v20
	ds_read_b64 v[12:13], v64
	;; [unrolled: 1-line block ×8, first 2 shown]
	s_waitcnt lgkmcnt(7)
	v_lshl_add_u64 v[8:9], v[8:9], 2, s[70:71]
	s_waitcnt lgkmcnt(6)
	v_lshl_add_u64 v[12:13], v[12:13], 2, s[70:71]
	;; [unrolled: 2-line block ×8, first 2 shown]
	v_lshl_add_u64 v[8:9], v[8:9], 0, v[6:7]
	v_lshl_add_u64 v[12:13], v[12:13], 0, v[6:7]
	;; [unrolled: 1-line block ×8, first 2 shown]
	global_store_dword v[8:9], v25, off
	global_store_dword v[12:13], v29, off offset:1024
	global_store_dword v[44:45], v32, off offset:2048
	;; [unrolled: 1-line block ×3, first 2 shown]
	global_store_dword v[30:31], v42, off
	global_store_dword v[34:35], v49, off
	;; [unrolled: 1-line block ×4, first 2 shown]
	v_lshrrev_b32_e32 v8, s80, v51
	v_and_b32_e32 v8, s11, v8
	ds_read_b64 v[6:7], v71
	v_lshlrev_b32_e32 v25, 3, v8
	v_lshrrev_b32_e32 v8, s80, v52
	v_and_b32_e32 v8, s11, v8
	v_lshlrev_b32_e32 v29, 3, v8
	v_lshrrev_b32_e32 v8, s80, v53
	v_and_b32_e32 v8, s11, v8
	v_lshlrev_b32_e32 v32, 3, v8
	ds_read_b64 v[8:9], v25
	ds_read_b64 v[12:13], v29
	ds_read_b64 v[30:31], v32
	s_waitcnt lgkmcnt(3)
	v_lshl_add_u64 v[6:7], v[6:7], 2, s[70:71]
	v_lshlrev_b32_e32 v34, 2, v11
	v_mov_b32_e32 v35, v1
	v_xor_b32_e32 v50, 0x80000000, v50
	v_lshl_add_u64 v[6:7], v[6:7], 0, v[34:35]
	v_add_u32_e32 v39, 0x900, v2
	global_store_dword v[6:7], v50, off
	s_waitcnt lgkmcnt(2)
	v_lshl_add_u64 v[6:7], v[8:9], 2, s[70:71]
	v_lshlrev_b32_e32 v8, 2, v39
	v_mov_b32_e32 v9, v1
	v_xor_b32_e32 v34, 0x80000000, v51
	v_lshl_add_u64 v[6:7], v[6:7], 0, v[8:9]
	global_store_dword v[6:7], v34, off
	v_lshlrev_b32_e32 v6, 1, v14
	v_mov_b32_e32 v7, v1
	v_lshl_add_u64 v[6:7], s[0:1], 0, v[6:7]
	v_lshlrev_b32_e32 v8, 1, v3
	v_lshl_add_u64 v[6:7], v[6:7], 0, v[8:9]
	global_load_ushort v3, v[6:7], off
	global_load_ushort v41, v[6:7], off offset:128
	global_load_ushort v42, v[6:7], off offset:256
	;; [unrolled: 1-line block ×7, first 2 shown]
	v_add_u32_e32 v40, 0xa00, v2
	s_waitcnt lgkmcnt(1)
	v_lshl_add_u64 v[8:9], v[12:13], 2, s[70:71]
	v_lshlrev_b32_e32 v12, 2, v40
	v_mov_b32_e32 v13, v1
	global_load_ushort v51, v[6:7], off offset:1024
	v_xor_b32_e32 v14, 0x80000000, v52
	v_lshl_add_u64 v[8:9], v[8:9], 0, v[12:13]
	global_load_ushort v52, v[6:7], off offset:1152
	v_add_u32_e32 v50, 0xb00, v2
	global_store_dword v[8:9], v14, off
	v_xor_b32_e32 v14, 0x80000000, v53
	global_load_ushort v53, v[6:7], off offset:1280
	global_load_ushort v54, v[6:7], off offset:1408
	;; [unrolled: 1-line block ×6, first 2 shown]
	s_waitcnt lgkmcnt(0)
	v_lshl_add_u64 v[8:9], v[30:31], 2, s[70:71]
	v_lshlrev_b32_e32 v12, 2, v50
	v_lshl_add_u64 v[8:9], v[8:9], 0, v[12:13]
	ds_read2st64_b32 v[12:13], v15 offset0:56 offset1:60
	global_store_dword v[8:9], v14, off
	v_or_b32_e32 v59, 0xc00, v2
	v_lshlrev_b32_e32 v36, 2, v59
	v_mov_b32_e32 v37, v1
	s_waitcnt lgkmcnt(0)
	v_lshrrev_b32_e32 v6, s80, v12
	v_and_b32_e32 v6, s11, v6
	v_lshlrev_b32_e32 v60, 3, v6
	ds_read2st64_b32 v[6:7], v15 offset0:64 offset1:68
	ds_read_b64 v[8:9], v60
	v_lshrrev_b32_e32 v14, s80, v13
	v_and_b32_e32 v14, s11, v14
	v_lshlrev_b32_e32 v61, 3, v14
	s_waitcnt lgkmcnt(1)
	v_lshrrev_b32_e32 v14, s80, v6
	v_and_b32_e32 v14, s11, v14
	v_lshlrev_b32_e32 v62, 3, v14
	v_lshrrev_b32_e32 v14, s80, v7
	v_and_b32_e32 v14, s11, v14
	v_lshlrev_b32_e32 v63, 3, v14
	ds_read_b64 v[14:15], v61
	ds_read_b64 v[30:31], v62
	;; [unrolled: 1-line block ×3, first 2 shown]
	s_waitcnt lgkmcnt(3)
	v_lshl_add_u64 v[8:9], v[8:9], 2, s[70:71]
	v_xor_b32_e32 v12, 0x80000000, v12
	v_lshl_add_u64 v[8:9], v[8:9], 0, v[36:37]
	v_add_u32_e32 v36, 0xd00, v2
	global_store_dword v[8:9], v12, off
	v_xor_b32_e32 v37, 0x80000000, v13
	s_waitcnt lgkmcnt(2)
	v_lshl_add_u64 v[8:9], v[14:15], 2, s[70:71]
	v_lshlrev_b32_e32 v12, 2, v36
	v_mov_b32_e32 v13, v1
	v_lshl_add_u64 v[8:9], v[8:9], 0, v[12:13]
	global_store_dword v[8:9], v37, off
	v_add_u32_e32 v37, 0xe00, v2
	s_waitcnt lgkmcnt(1)
	v_lshl_add_u64 v[8:9], v[30:31], 2, s[70:71]
	v_lshlrev_b32_e32 v12, 2, v37
	v_xor_b32_e32 v6, 0x80000000, v6
	v_lshl_add_u64 v[8:9], v[8:9], 0, v[12:13]
	v_add_u32_e32 v30, 0xf00, v2
	global_store_dword v[8:9], v6, off
	v_xor_b32_e32 v12, 0x80000000, v7
	s_waitcnt lgkmcnt(0)
	v_lshl_add_u64 v[6:7], v[34:35], 2, s[70:71]
	v_lshlrev_b32_e32 v8, 2, v30
	v_mov_b32_e32 v9, v1
	v_lshl_add_u64 v[6:7], v[6:7], 0, v[8:9]
	global_store_dword v[6:7], v12, off
	v_lshlrev_b32_e32 v6, 1, v48
	s_barrier
	v_lshlrev_b32_e32 v2, 1, v2
	s_waitcnt vmcnt(21)
	ds_write_b16 v6, v3 offset:2048
	v_lshlrev_b32_e32 v3, 1, v43
	s_waitcnt vmcnt(20)
	ds_write_b16 v3, v41 offset:2048
	;; [unrolled: 3-line block ×16, first 2 shown]
	s_waitcnt lgkmcnt(0)
	s_barrier
	ds_read_b64 v[6:7], v20
	ds_read_b64 v[8:9], v64
	;; [unrolled: 1-line block ×4, first 2 shown]
	v_mov_b32_e32 v3, v1
	ds_read_u16 v5, v2 offset:2048
	ds_read_u16 v16, v2 offset:2560
	ds_read_u16 v17, v2 offset:3072
	ds_read_u16 v18, v2 offset:3584
	ds_read_u16 v19, v2 offset:4096
	ds_read_u16 v20, v2 offset:4608
	ds_read_u16 v21, v2 offset:5120
	ds_read_u16 v22, v2 offset:5632
	s_waitcnt lgkmcnt(11)
	v_lshl_add_u64 v[6:7], v[6:7], 1, s[74:75]
	v_lshl_add_u64 v[6:7], v[6:7], 0, v[2:3]
	s_waitcnt lgkmcnt(7)
	global_store_short v[6:7], v5, off
	v_lshl_add_u64 v[6:7], v[8:9], 1, s[74:75]
	v_lshl_add_u64 v[6:7], v[6:7], 0, v[2:3]
	s_waitcnt lgkmcnt(6)
	global_store_short v[6:7], v16, off offset:512
	v_lshl_add_u64 v[6:7], v[12:13], 1, s[74:75]
	v_lshl_add_u64 v[6:7], v[6:7], 0, v[2:3]
	s_waitcnt lgkmcnt(5)
	global_store_short v[6:7], v17, off offset:1024
	v_lshl_add_u64 v[6:7], v[14:15], 1, s[74:75]
	v_lshl_add_u64 v[6:7], v[6:7], 0, v[2:3]
	ds_read_b64 v[8:9], v67
	s_waitcnt lgkmcnt(5)
	global_store_short v[6:7], v18, off offset:1536
	ds_read_b64 v[6:7], v68
	ds_read_b64 v[12:13], v69
	;; [unrolled: 1-line block ×3, first 2 shown]
	v_lshlrev_b32_e32 v16, 1, v11
	v_mov_b32_e32 v17, v1
	s_waitcnt lgkmcnt(3)
	v_lshl_add_u64 v[8:9], v[8:9], 1, s[74:75]
	s_waitcnt lgkmcnt(2)
	v_lshl_add_u64 v[6:7], v[6:7], 1, s[74:75]
	v_lshl_add_u64 v[8:9], v[8:9], 0, v[2:3]
	;; [unrolled: 1-line block ×3, first 2 shown]
	global_store_short v[8:9], v19, off offset:2048
	global_store_short v[6:7], v20, off offset:2560
	s_waitcnt lgkmcnt(1)
	v_lshl_add_u64 v[6:7], v[12:13], 1, s[74:75]
	v_lshl_add_u64 v[6:7], v[6:7], 0, v[2:3]
	ds_read_b64 v[8:9], v71
	global_store_short v[6:7], v21, off offset:3072
	s_waitcnt lgkmcnt(1)
	v_lshl_add_u64 v[6:7], v[14:15], 1, s[74:75]
	v_lshl_add_u64 v[6:7], v[6:7], 0, v[2:3]
	global_store_short v[6:7], v22, off offset:3584
	ds_read_b64 v[6:7], v25
	ds_read_b64 v[12:13], v29
	;; [unrolled: 1-line block ×3, first 2 shown]
	s_waitcnt lgkmcnt(3)
	v_lshl_add_u64 v[8:9], v[8:9], 1, s[74:75]
	v_lshl_add_u64 v[8:9], v[8:9], 0, v[16:17]
	ds_read_u16 v3, v2 offset:6144
	ds_read_u16 v5, v2 offset:6656
	;; [unrolled: 1-line block ×8, first 2 shown]
	s_waitcnt lgkmcnt(7)
	global_store_short v[8:9], v3, off
	v_lshl_add_u64 v[2:3], v[6:7], 1, s[74:75]
	v_lshlrev_b32_e32 v6, 1, v39
	v_mov_b32_e32 v7, v1
	v_lshl_add_u64 v[2:3], v[2:3], 0, v[6:7]
	s_waitcnt lgkmcnt(6)
	global_store_short v[2:3], v5, off
	v_lshl_add_u64 v[2:3], v[12:13], 1, s[74:75]
	v_lshlrev_b32_e32 v6, 1, v40
	v_lshl_add_u64 v[2:3], v[2:3], 0, v[6:7]
	s_waitcnt lgkmcnt(5)
	global_store_short v[2:3], v11, off
	v_lshl_add_u64 v[2:3], v[14:15], 1, s[74:75]
	v_lshlrev_b32_e32 v6, 1, v50
	v_lshl_add_u64 v[2:3], v[2:3], 0, v[6:7]
	ds_read_b64 v[6:7], v60
	s_waitcnt lgkmcnt(5)
	global_store_short v[2:3], v16, off
	ds_read_b64 v[2:3], v61
	ds_read_b64 v[8:9], v62
	;; [unrolled: 1-line block ×3, first 2 shown]
	v_lshlrev_b32_e32 v14, 1, v59
	v_mov_b32_e32 v15, v1
	s_waitcnt lgkmcnt(3)
	v_lshl_add_u64 v[6:7], v[6:7], 1, s[74:75]
	v_lshl_add_u64 v[6:7], v[6:7], 0, v[14:15]
	global_store_short v[6:7], v17, off
	s_waitcnt lgkmcnt(2)
	v_lshl_add_u64 v[2:3], v[2:3], 1, s[74:75]
	v_lshlrev_b32_e32 v6, 1, v36
	v_mov_b32_e32 v7, v1
	v_lshl_add_u64 v[2:3], v[2:3], 0, v[6:7]
	global_store_short v[2:3], v18, off
	s_waitcnt lgkmcnt(1)
	v_lshl_add_u64 v[2:3], v[8:9], 1, s[74:75]
	v_lshlrev_b32_e32 v6, 1, v37
	v_lshl_add_u64 v[2:3], v[2:3], 0, v[6:7]
	global_store_short v[2:3], v19, off
	s_waitcnt lgkmcnt(0)
	v_lshl_add_u64 v[2:3], v[12:13], 1, s[74:75]
	v_lshlrev_b32_e32 v6, 1, v30
	v_lshl_add_u64 v[2:3], v[2:3], 0, v[6:7]
	global_store_short v[2:3], v20, off
	s_cbranch_scc1 .LBB25_247
; %bb.246:
	ds_read_b64 v[2:3], v10
	v_mov_b32_e32 v5, v1
	v_lshl_add_u64 v[0:1], v[4:5], 0, v[0:1]
	s_waitcnt lgkmcnt(0)
	v_lshl_add_u64 v[0:1], v[0:1], 0, v[2:3]
	global_store_dwordx2 v10, v[0:1], s[78:79]
.LBB25_247:
	s_endpgm
.LBB25_248:
	s_or_b64 exec, exec, s[4:5]
	s_and_saveexec_b64 s[4:5], s[36:37]
	s_cbranch_execz .LBB25_179
.LBB25_249:
	v_lshlrev_b32_e32 v7, 3, v41
	ds_read_b64 v[26:27], v7
	v_lshlrev_b32_e32 v28, 1, v2
	ds_read_u16 v7, v28 offset:2560
	v_mov_b32_e32 v29, 0
	s_waitcnt lgkmcnt(1)
	v_lshl_add_u64 v[26:27], v[26:27], 1, s[74:75]
	v_lshl_add_u64 v[26:27], v[26:27], 0, v[28:29]
	s_waitcnt lgkmcnt(0)
	global_store_short v[26:27], v7, off offset:512
	s_or_b64 exec, exec, s[4:5]
	s_and_saveexec_b64 s[4:5], s[38:39]
	s_cbranch_execnz .LBB25_180
.LBB25_250:
	s_or_b64 exec, exec, s[4:5]
	s_and_saveexec_b64 s[4:5], s[40:41]
	s_cbranch_execz .LBB25_181
.LBB25_251:
	v_lshlrev_b32_e32 v7, 3, v38
	ds_read_b64 v[26:27], v7
	v_lshlrev_b32_e32 v28, 1, v2
	ds_read_u16 v7, v28 offset:3584
	v_mov_b32_e32 v29, 0
	s_waitcnt lgkmcnt(1)
	v_lshl_add_u64 v[26:27], v[26:27], 1, s[74:75]
	v_lshl_add_u64 v[26:27], v[26:27], 0, v[28:29]
	s_waitcnt lgkmcnt(0)
	global_store_short v[26:27], v7, off offset:1536
	s_or_b64 exec, exec, s[4:5]
	s_and_saveexec_b64 s[4:5], s[42:43]
	s_cbranch_execnz .LBB25_182
.LBB25_252:
	s_or_b64 exec, exec, s[4:5]
	s_and_saveexec_b64 s[4:5], s[44:45]
	s_cbranch_execz .LBB25_183
.LBB25_253:
	v_lshlrev_b32_e32 v7, 3, v24
	ds_read_b64 v[24:25], v7
	v_lshlrev_b32_e32 v26, 1, v2
	ds_read_u16 v7, v26 offset:4608
	v_mov_b32_e32 v27, 0
	s_waitcnt lgkmcnt(1)
	v_lshl_add_u64 v[24:25], v[24:25], 1, s[74:75]
	v_lshl_add_u64 v[24:25], v[24:25], 0, v[26:27]
	s_waitcnt lgkmcnt(0)
	global_store_short v[24:25], v7, off offset:2560
	s_or_b64 exec, exec, s[4:5]
	s_and_saveexec_b64 s[4:5], s[46:47]
	s_cbranch_execnz .LBB25_184
.LBB25_254:
	s_or_b64 exec, exec, s[4:5]
	s_and_saveexec_b64 s[4:5], s[48:49]
	s_cbranch_execz .LBB25_185
.LBB25_255:
	v_lshlrev_b32_e32 v7, 3, v23
	ds_read_b64 v[24:25], v7
	v_lshlrev_b32_e32 v26, 1, v2
	ds_read_u16 v7, v26 offset:5632
	v_mov_b32_e32 v27, 0
	s_waitcnt lgkmcnt(1)
	v_lshl_add_u64 v[24:25], v[24:25], 1, s[74:75]
	v_lshl_add_u64 v[24:25], v[24:25], 0, v[26:27]
	s_waitcnt lgkmcnt(0)
	global_store_short v[24:25], v7, off offset:3584
	s_or_b64 exec, exec, s[4:5]
	s_and_saveexec_b64 s[4:5], s[50:51]
	s_cbranch_execnz .LBB25_186
.LBB25_256:
	s_or_b64 exec, exec, s[4:5]
	s_and_saveexec_b64 s[4:5], s[52:53]
	s_cbranch_execz .LBB25_187
.LBB25_257:
	v_lshlrev_b32_e32 v7, 3, v21
	ds_read_b64 v[24:25], v7
	v_lshlrev_b32_e32 v7, 1, v2
	ds_read_u16 v7, v7 offset:6656
	v_lshlrev_b32_e32 v26, 1, v12
	v_mov_b32_e32 v27, 0
	s_waitcnt lgkmcnt(1)
	v_lshl_add_u64 v[24:25], v[24:25], 1, s[74:75]
	v_lshl_add_u64 v[24:25], v[24:25], 0, v[26:27]
	s_waitcnt lgkmcnt(0)
	global_store_short v[24:25], v7, off
	s_or_b64 exec, exec, s[4:5]
	s_and_saveexec_b64 s[4:5], s[54:55]
	s_cbranch_execnz .LBB25_188
.LBB25_258:
	s_or_b64 exec, exec, s[4:5]
	s_and_saveexec_b64 s[4:5], s[56:57]
	s_cbranch_execz .LBB25_189
.LBB25_259:
	v_lshlrev_b32_e32 v7, 3, v14
	ds_read_b64 v[12:13], v7
	v_lshlrev_b32_e32 v7, 1, v2
	ds_read_u16 v7, v7 offset:7680
	v_lshlrev_b32_e32 v14, 1, v15
	v_mov_b32_e32 v15, 0
	s_waitcnt lgkmcnt(1)
	v_lshl_add_u64 v[12:13], v[12:13], 1, s[74:75]
	v_lshl_add_u64 v[12:13], v[12:13], 0, v[14:15]
	s_waitcnt lgkmcnt(0)
	global_store_short v[12:13], v7, off
	s_or_b64 exec, exec, s[4:5]
	s_and_saveexec_b64 s[4:5], s[58:59]
	s_cbranch_execnz .LBB25_190
.LBB25_260:
	s_or_b64 exec, exec, s[4:5]
	s_and_saveexec_b64 s[4:5], s[60:61]
	s_cbranch_execz .LBB25_191
.LBB25_261:
	v_lshlrev_b32_e32 v7, 3, v8
	ds_read_b64 v[12:13], v7
	v_lshlrev_b32_e32 v7, 1, v2
	ds_read_u16 v7, v7 offset:8704
	v_lshlrev_b32_e32 v14, 1, v17
	v_mov_b32_e32 v15, 0
	s_waitcnt lgkmcnt(1)
	v_lshl_add_u64 v[12:13], v[12:13], 1, s[74:75]
	v_lshl_add_u64 v[12:13], v[12:13], 0, v[14:15]
	s_waitcnt lgkmcnt(0)
	global_store_short v[12:13], v7, off
	s_or_b64 exec, exec, s[4:5]
	s_and_saveexec_b64 s[4:5], s[62:63]
	s_cbranch_execnz .LBB25_192
.LBB25_262:
	s_or_b64 exec, exec, s[4:5]
	s_and_saveexec_b64 s[4:5], s[64:65]
	s_cbranch_execz .LBB25_193
.LBB25_263:
	v_lshlrev_b32_e32 v3, 3, v3
	ds_read_b64 v[8:9], v3
	v_lshlrev_b32_e32 v2, 1, v2
	ds_read_u16 v7, v2 offset:9728
	v_lshlrev_b32_e32 v2, 1, v19
	v_mov_b32_e32 v3, 0
	s_waitcnt lgkmcnt(1)
	v_lshl_add_u64 v[8:9], v[8:9], 1, s[74:75]
	v_lshl_add_u64 v[2:3], v[8:9], 0, v[2:3]
	s_waitcnt lgkmcnt(0)
	global_store_short v[2:3], v7, off
	s_or_b64 exec, exec, s[4:5]
	s_add_i32 s33, s33, -1
	s_cmp_eq_u32 s2, s33
	s_cbranch_scc1 .LBB25_194
	s_branch .LBB25_195
	.section	.rodata,"a",@progbits
	.p2align	6, 0x0
	.amdhsa_kernel _ZN7rocprim17ROCPRIM_304000_NS6detail25onesweep_iteration_kernelINS1_34wrapped_radix_sort_onesweep_configINS0_14default_configEiN2at4cuda3cub6detail10OpaqueTypeILi2EEEEELb0EPiSC_PSA_SD_mNS0_19identity_decomposerEEEvT1_T2_T3_T4_jPT5_SK_PNS1_23onesweep_lookback_stateET6_jjj
		.amdhsa_group_segment_fixed_size 18432
		.amdhsa_private_segment_fixed_size 0
		.amdhsa_kernarg_size 336
		.amdhsa_user_sgpr_count 2
		.amdhsa_user_sgpr_dispatch_ptr 0
		.amdhsa_user_sgpr_queue_ptr 0
		.amdhsa_user_sgpr_kernarg_segment_ptr 1
		.amdhsa_user_sgpr_dispatch_id 0
		.amdhsa_user_sgpr_kernarg_preload_length 0
		.amdhsa_user_sgpr_kernarg_preload_offset 0
		.amdhsa_user_sgpr_private_segment_size 0
		.amdhsa_uses_dynamic_stack 0
		.amdhsa_enable_private_segment 0
		.amdhsa_system_sgpr_workgroup_id_x 1
		.amdhsa_system_sgpr_workgroup_id_y 0
		.amdhsa_system_sgpr_workgroup_id_z 0
		.amdhsa_system_sgpr_workgroup_info 0
		.amdhsa_system_vgpr_workitem_id 2
		.amdhsa_next_free_vgpr 79
		.amdhsa_next_free_sgpr 89
		.amdhsa_accum_offset 80
		.amdhsa_reserve_vcc 1
		.amdhsa_float_round_mode_32 0
		.amdhsa_float_round_mode_16_64 0
		.amdhsa_float_denorm_mode_32 3
		.amdhsa_float_denorm_mode_16_64 3
		.amdhsa_dx10_clamp 1
		.amdhsa_ieee_mode 1
		.amdhsa_fp16_overflow 0
		.amdhsa_tg_split 0
		.amdhsa_exception_fp_ieee_invalid_op 0
		.amdhsa_exception_fp_denorm_src 0
		.amdhsa_exception_fp_ieee_div_zero 0
		.amdhsa_exception_fp_ieee_overflow 0
		.amdhsa_exception_fp_ieee_underflow 0
		.amdhsa_exception_fp_ieee_inexact 0
		.amdhsa_exception_int_div_zero 0
	.end_amdhsa_kernel
	.section	.text._ZN7rocprim17ROCPRIM_304000_NS6detail25onesweep_iteration_kernelINS1_34wrapped_radix_sort_onesweep_configINS0_14default_configEiN2at4cuda3cub6detail10OpaqueTypeILi2EEEEELb0EPiSC_PSA_SD_mNS0_19identity_decomposerEEEvT1_T2_T3_T4_jPT5_SK_PNS1_23onesweep_lookback_stateET6_jjj,"axG",@progbits,_ZN7rocprim17ROCPRIM_304000_NS6detail25onesweep_iteration_kernelINS1_34wrapped_radix_sort_onesweep_configINS0_14default_configEiN2at4cuda3cub6detail10OpaqueTypeILi2EEEEELb0EPiSC_PSA_SD_mNS0_19identity_decomposerEEEvT1_T2_T3_T4_jPT5_SK_PNS1_23onesweep_lookback_stateET6_jjj,comdat
.Lfunc_end25:
	.size	_ZN7rocprim17ROCPRIM_304000_NS6detail25onesweep_iteration_kernelINS1_34wrapped_radix_sort_onesweep_configINS0_14default_configEiN2at4cuda3cub6detail10OpaqueTypeILi2EEEEELb0EPiSC_PSA_SD_mNS0_19identity_decomposerEEEvT1_T2_T3_T4_jPT5_SK_PNS1_23onesweep_lookback_stateET6_jjj, .Lfunc_end25-_ZN7rocprim17ROCPRIM_304000_NS6detail25onesweep_iteration_kernelINS1_34wrapped_radix_sort_onesweep_configINS0_14default_configEiN2at4cuda3cub6detail10OpaqueTypeILi2EEEEELb0EPiSC_PSA_SD_mNS0_19identity_decomposerEEEvT1_T2_T3_T4_jPT5_SK_PNS1_23onesweep_lookback_stateET6_jjj
                                        ; -- End function
	.set _ZN7rocprim17ROCPRIM_304000_NS6detail25onesweep_iteration_kernelINS1_34wrapped_radix_sort_onesweep_configINS0_14default_configEiN2at4cuda3cub6detail10OpaqueTypeILi2EEEEELb0EPiSC_PSA_SD_mNS0_19identity_decomposerEEEvT1_T2_T3_T4_jPT5_SK_PNS1_23onesweep_lookback_stateET6_jjj.num_vgpr, 79
	.set _ZN7rocprim17ROCPRIM_304000_NS6detail25onesweep_iteration_kernelINS1_34wrapped_radix_sort_onesweep_configINS0_14default_configEiN2at4cuda3cub6detail10OpaqueTypeILi2EEEEELb0EPiSC_PSA_SD_mNS0_19identity_decomposerEEEvT1_T2_T3_T4_jPT5_SK_PNS1_23onesweep_lookback_stateET6_jjj.num_agpr, 0
	.set _ZN7rocprim17ROCPRIM_304000_NS6detail25onesweep_iteration_kernelINS1_34wrapped_radix_sort_onesweep_configINS0_14default_configEiN2at4cuda3cub6detail10OpaqueTypeILi2EEEEELb0EPiSC_PSA_SD_mNS0_19identity_decomposerEEEvT1_T2_T3_T4_jPT5_SK_PNS1_23onesweep_lookback_stateET6_jjj.numbered_sgpr, 89
	.set _ZN7rocprim17ROCPRIM_304000_NS6detail25onesweep_iteration_kernelINS1_34wrapped_radix_sort_onesweep_configINS0_14default_configEiN2at4cuda3cub6detail10OpaqueTypeILi2EEEEELb0EPiSC_PSA_SD_mNS0_19identity_decomposerEEEvT1_T2_T3_T4_jPT5_SK_PNS1_23onesweep_lookback_stateET6_jjj.num_named_barrier, 0
	.set _ZN7rocprim17ROCPRIM_304000_NS6detail25onesweep_iteration_kernelINS1_34wrapped_radix_sort_onesweep_configINS0_14default_configEiN2at4cuda3cub6detail10OpaqueTypeILi2EEEEELb0EPiSC_PSA_SD_mNS0_19identity_decomposerEEEvT1_T2_T3_T4_jPT5_SK_PNS1_23onesweep_lookback_stateET6_jjj.private_seg_size, 0
	.set _ZN7rocprim17ROCPRIM_304000_NS6detail25onesweep_iteration_kernelINS1_34wrapped_radix_sort_onesweep_configINS0_14default_configEiN2at4cuda3cub6detail10OpaqueTypeILi2EEEEELb0EPiSC_PSA_SD_mNS0_19identity_decomposerEEEvT1_T2_T3_T4_jPT5_SK_PNS1_23onesweep_lookback_stateET6_jjj.uses_vcc, 1
	.set _ZN7rocprim17ROCPRIM_304000_NS6detail25onesweep_iteration_kernelINS1_34wrapped_radix_sort_onesweep_configINS0_14default_configEiN2at4cuda3cub6detail10OpaqueTypeILi2EEEEELb0EPiSC_PSA_SD_mNS0_19identity_decomposerEEEvT1_T2_T3_T4_jPT5_SK_PNS1_23onesweep_lookback_stateET6_jjj.uses_flat_scratch, 0
	.set _ZN7rocprim17ROCPRIM_304000_NS6detail25onesweep_iteration_kernelINS1_34wrapped_radix_sort_onesweep_configINS0_14default_configEiN2at4cuda3cub6detail10OpaqueTypeILi2EEEEELb0EPiSC_PSA_SD_mNS0_19identity_decomposerEEEvT1_T2_T3_T4_jPT5_SK_PNS1_23onesweep_lookback_stateET6_jjj.has_dyn_sized_stack, 0
	.set _ZN7rocprim17ROCPRIM_304000_NS6detail25onesweep_iteration_kernelINS1_34wrapped_radix_sort_onesweep_configINS0_14default_configEiN2at4cuda3cub6detail10OpaqueTypeILi2EEEEELb0EPiSC_PSA_SD_mNS0_19identity_decomposerEEEvT1_T2_T3_T4_jPT5_SK_PNS1_23onesweep_lookback_stateET6_jjj.has_recursion, 0
	.set _ZN7rocprim17ROCPRIM_304000_NS6detail25onesweep_iteration_kernelINS1_34wrapped_radix_sort_onesweep_configINS0_14default_configEiN2at4cuda3cub6detail10OpaqueTypeILi2EEEEELb0EPiSC_PSA_SD_mNS0_19identity_decomposerEEEvT1_T2_T3_T4_jPT5_SK_PNS1_23onesweep_lookback_stateET6_jjj.has_indirect_call, 0
	.section	.AMDGPU.csdata,"",@progbits
; Kernel info:
; codeLenInByte = 24668
; TotalNumSgprs: 95
; NumVgprs: 79
; NumAgprs: 0
; TotalNumVgprs: 79
; ScratchSize: 0
; MemoryBound: 0
; FloatMode: 240
; IeeeMode: 1
; LDSByteSize: 18432 bytes/workgroup (compile time only)
; SGPRBlocks: 11
; VGPRBlocks: 9
; NumSGPRsForWavesPerEU: 95
; NumVGPRsForWavesPerEU: 79
; AccumOffset: 80
; Occupancy: 6
; WaveLimiterHint : 1
; COMPUTE_PGM_RSRC2:SCRATCH_EN: 0
; COMPUTE_PGM_RSRC2:USER_SGPR: 2
; COMPUTE_PGM_RSRC2:TRAP_HANDLER: 0
; COMPUTE_PGM_RSRC2:TGID_X_EN: 1
; COMPUTE_PGM_RSRC2:TGID_Y_EN: 0
; COMPUTE_PGM_RSRC2:TGID_Z_EN: 0
; COMPUTE_PGM_RSRC2:TIDIG_COMP_CNT: 2
; COMPUTE_PGM_RSRC3_GFX90A:ACCUM_OFFSET: 19
; COMPUTE_PGM_RSRC3_GFX90A:TG_SPLIT: 0
	.section	.AMDGPU.gpr_maximums,"",@progbits
	.set amdgpu.max_num_vgpr, 0
	.set amdgpu.max_num_agpr, 0
	.set amdgpu.max_num_sgpr, 0
	.section	.AMDGPU.csdata,"",@progbits
	.type	__hip_cuid_c6717a9d7abe79,@object ; @__hip_cuid_c6717a9d7abe79
	.section	.bss,"aw",@nobits
	.globl	__hip_cuid_c6717a9d7abe79
__hip_cuid_c6717a9d7abe79:
	.byte	0                               ; 0x0
	.size	__hip_cuid_c6717a9d7abe79, 1

	.ident	"AMD clang version 22.0.0git (https://github.com/RadeonOpenCompute/llvm-project roc-7.2.4 26084 f58b06dce1f9c15707c5f808fd002e18c2accf7e)"
	.section	".note.GNU-stack","",@progbits
	.addrsig
	.addrsig_sym __hip_cuid_c6717a9d7abe79
	.amdgpu_metadata
---
amdhsa.kernels:
  - .agpr_count:     0
    .args:
      - .address_space:  global
        .offset:         0
        .size:           8
        .value_kind:     global_buffer
      - .address_space:  global
        .offset:         8
        .size:           8
        .value_kind:     global_buffer
      - .address_space:  global
        .offset:         16
        .size:           8
        .value_kind:     global_buffer
      - .address_space:  global
        .offset:         24
        .size:           8
        .value_kind:     global_buffer
      - .offset:         32
        .size:           4
        .value_kind:     by_value
      - .offset:         36
        .size:           1
        .value_kind:     by_value
      - .offset:         40
        .size:           4
        .value_kind:     by_value
      - .offset:         44
        .size:           4
        .value_kind:     by_value
      - .offset:         48
        .size:           4
        .value_kind:     hidden_block_count_x
      - .offset:         52
        .size:           4
        .value_kind:     hidden_block_count_y
      - .offset:         56
        .size:           4
        .value_kind:     hidden_block_count_z
      - .offset:         60
        .size:           2
        .value_kind:     hidden_group_size_x
      - .offset:         62
        .size:           2
        .value_kind:     hidden_group_size_y
      - .offset:         64
        .size:           2
        .value_kind:     hidden_group_size_z
      - .offset:         66
        .size:           2
        .value_kind:     hidden_remainder_x
      - .offset:         68
        .size:           2
        .value_kind:     hidden_remainder_y
      - .offset:         70
        .size:           2
        .value_kind:     hidden_remainder_z
      - .offset:         88
        .size:           8
        .value_kind:     hidden_global_offset_x
      - .offset:         96
        .size:           8
        .value_kind:     hidden_global_offset_y
      - .offset:         104
        .size:           8
        .value_kind:     hidden_global_offset_z
      - .offset:         112
        .size:           2
        .value_kind:     hidden_grid_dims
    .group_segment_fixed_size: 4112
    .kernarg_segment_align: 8
    .kernarg_segment_size: 304
    .language:       OpenCL C
    .language_version:
      - 2
      - 0
    .max_flat_workgroup_size: 256
    .name:           _ZN7rocprim17ROCPRIM_304000_NS6detail28radix_sort_block_sort_kernelINS1_36wrapped_radix_sort_block_sort_configINS0_13kernel_configILj256ELj4ELj4294967295EEEiN2at4cuda3cub6detail10OpaqueTypeILi2EEEEELb1EPKiPiPKSB_PSB_NS0_19identity_decomposerEEEvT1_T2_T3_T4_jT5_jj
    .private_segment_fixed_size: 0
    .sgpr_count:     52
    .sgpr_spill_count: 0
    .symbol:         _ZN7rocprim17ROCPRIM_304000_NS6detail28radix_sort_block_sort_kernelINS1_36wrapped_radix_sort_block_sort_configINS0_13kernel_configILj256ELj4ELj4294967295EEEiN2at4cuda3cub6detail10OpaqueTypeILi2EEEEELb1EPKiPiPKSB_PSB_NS0_19identity_decomposerEEEvT1_T2_T3_T4_jT5_jj.kd
    .uniform_work_group_size: 1
    .uses_dynamic_stack: false
    .vgpr_count:     47
    .vgpr_spill_count: 0
    .wavefront_size: 64
  - .agpr_count:     0
    .args:           []
    .group_segment_fixed_size: 0
    .kernarg_segment_align: 4
    .kernarg_segment_size: 0
    .language:       OpenCL C
    .language_version:
      - 2
      - 0
    .max_flat_workgroup_size: 1024
    .name:           _ZN7rocprim17ROCPRIM_304000_NS6detail39device_merge_sort_compile_time_verifierINS1_36wrapped_merge_sort_block_sort_configINS1_28merge_sort_block_sort_configILj256ELj4ELNS0_20block_sort_algorithmE0EEEiN2at4cuda3cub6detail10OpaqueTypeILi2EEEEENS1_37wrapped_merge_sort_block_merge_configINS0_14default_configEiSC_EEEEvv
    .private_segment_fixed_size: 0
    .sgpr_count:     6
    .sgpr_spill_count: 0
    .symbol:         _ZN7rocprim17ROCPRIM_304000_NS6detail39device_merge_sort_compile_time_verifierINS1_36wrapped_merge_sort_block_sort_configINS1_28merge_sort_block_sort_configILj256ELj4ELNS0_20block_sort_algorithmE0EEEiN2at4cuda3cub6detail10OpaqueTypeILi2EEEEENS1_37wrapped_merge_sort_block_merge_configINS0_14default_configEiSC_EEEEvv.kd
    .uniform_work_group_size: 1
    .uses_dynamic_stack: false
    .vgpr_count:     0
    .vgpr_spill_count: 0
    .wavefront_size: 64
  - .agpr_count:     0
    .args:
      - .address_space:  global
        .offset:         0
        .size:           8
        .value_kind:     global_buffer
      - .offset:         8
        .size:           4
        .value_kind:     by_value
      - .offset:         12
        .size:           4
        .value_kind:     by_value
      - .address_space:  global
        .offset:         16
        .size:           8
        .value_kind:     global_buffer
      - .offset:         24
        .size:           1
        .value_kind:     by_value
      - .offset:         28
        .size:           4
        .value_kind:     by_value
    .group_segment_fixed_size: 0
    .kernarg_segment_align: 8
    .kernarg_segment_size: 32
    .language:       OpenCL C
    .language_version:
      - 2
      - 0
    .max_flat_workgroup_size: 128
    .name:           _ZN7rocprim17ROCPRIM_304000_NS6detail45device_block_merge_mergepath_partition_kernelINS1_37wrapped_merge_sort_block_merge_configINS0_14default_configEiN2at4cuda3cub6detail10OpaqueTypeILi2EEEEEPijNS1_19radix_merge_compareILb1ELb0EiNS0_19identity_decomposerEEEEEvT0_T1_jPSH_T2_SH_
    .private_segment_fixed_size: 0
    .sgpr_count:     12
    .sgpr_spill_count: 0
    .symbol:         _ZN7rocprim17ROCPRIM_304000_NS6detail45device_block_merge_mergepath_partition_kernelINS1_37wrapped_merge_sort_block_merge_configINS0_14default_configEiN2at4cuda3cub6detail10OpaqueTypeILi2EEEEEPijNS1_19radix_merge_compareILb1ELb0EiNS0_19identity_decomposerEEEEEvT0_T1_jPSH_T2_SH_.kd
    .uniform_work_group_size: 1
    .uses_dynamic_stack: false
    .vgpr_count:     17
    .vgpr_spill_count: 0
    .wavefront_size: 64
  - .agpr_count:     0
    .args:
      - .address_space:  global
        .offset:         0
        .size:           8
        .value_kind:     global_buffer
      - .address_space:  global
        .offset:         8
        .size:           8
        .value_kind:     global_buffer
      - .address_space:  global
        .offset:         16
        .size:           8
        .value_kind:     global_buffer
      - .address_space:  global
        .offset:         24
        .size:           8
        .value_kind:     global_buffer
      - .offset:         32
        .size:           4
        .value_kind:     by_value
      - .offset:         36
        .size:           4
        .value_kind:     by_value
      - .offset:         40
        .size:           4
        .value_kind:     by_value
      - .offset:         44
        .size:           1
        .value_kind:     by_value
      - .address_space:  global
        .offset:         48
        .size:           8
        .value_kind:     global_buffer
      - .address_space:  global
        .offset:         56
        .size:           8
        .value_kind:     global_buffer
      - .offset:         64
        .size:           4
        .value_kind:     hidden_block_count_x
      - .offset:         68
        .size:           4
        .value_kind:     hidden_block_count_y
      - .offset:         72
        .size:           4
        .value_kind:     hidden_block_count_z
      - .offset:         76
        .size:           2
        .value_kind:     hidden_group_size_x
      - .offset:         78
        .size:           2
        .value_kind:     hidden_group_size_y
      - .offset:         80
        .size:           2
        .value_kind:     hidden_group_size_z
      - .offset:         82
        .size:           2
        .value_kind:     hidden_remainder_x
      - .offset:         84
        .size:           2
        .value_kind:     hidden_remainder_y
      - .offset:         86
        .size:           2
        .value_kind:     hidden_remainder_z
      - .offset:         104
        .size:           8
        .value_kind:     hidden_global_offset_x
      - .offset:         112
        .size:           8
        .value_kind:     hidden_global_offset_y
      - .offset:         120
        .size:           8
        .value_kind:     hidden_global_offset_z
      - .offset:         128
        .size:           2
        .value_kind:     hidden_grid_dims
    .group_segment_fixed_size: 4224
    .kernarg_segment_align: 8
    .kernarg_segment_size: 320
    .language:       OpenCL C
    .language_version:
      - 2
      - 0
    .max_flat_workgroup_size: 256
    .name:           _ZN7rocprim17ROCPRIM_304000_NS6detail35device_block_merge_mergepath_kernelINS1_37wrapped_merge_sort_block_merge_configINS0_14default_configEiN2at4cuda3cub6detail10OpaqueTypeILi2EEEEEPiSC_PSA_SD_jNS1_19radix_merge_compareILb1ELb0EiNS0_19identity_decomposerEEEEEvT0_T1_T2_T3_T4_SL_jT5_PKSL_NS1_7vsmem_tE
    .private_segment_fixed_size: 0
    .sgpr_count:     37
    .sgpr_spill_count: 0
    .symbol:         _ZN7rocprim17ROCPRIM_304000_NS6detail35device_block_merge_mergepath_kernelINS1_37wrapped_merge_sort_block_merge_configINS0_14default_configEiN2at4cuda3cub6detail10OpaqueTypeILi2EEEEEPiSC_PSA_SD_jNS1_19radix_merge_compareILb1ELb0EiNS0_19identity_decomposerEEEEEvT0_T1_T2_T3_T4_SL_jT5_PKSL_NS1_7vsmem_tE.kd
    .uniform_work_group_size: 1
    .uses_dynamic_stack: false
    .vgpr_count:     22
    .vgpr_spill_count: 0
    .wavefront_size: 64
  - .agpr_count:     0
    .args:
      - .address_space:  global
        .offset:         0
        .size:           8
        .value_kind:     global_buffer
      - .address_space:  global
        .offset:         8
        .size:           8
        .value_kind:     global_buffer
      - .address_space:  global
        .offset:         16
        .size:           8
        .value_kind:     global_buffer
      - .address_space:  global
        .offset:         24
        .size:           8
        .value_kind:     global_buffer
      - .offset:         32
        .size:           4
        .value_kind:     by_value
      - .offset:         36
        .size:           4
        .value_kind:     by_value
      - .offset:         40
        .size:           1
        .value_kind:     by_value
    .group_segment_fixed_size: 0
    .kernarg_segment_align: 8
    .kernarg_segment_size: 44
    .language:       OpenCL C
    .language_version:
      - 2
      - 0
    .max_flat_workgroup_size: 256
    .name:           _ZN7rocprim17ROCPRIM_304000_NS6detail33device_block_merge_oddeven_kernelINS1_37wrapped_merge_sort_block_merge_configINS0_14default_configEiN2at4cuda3cub6detail10OpaqueTypeILi2EEEEEPiSC_PSA_SD_jNS1_19radix_merge_compareILb1ELb0EiNS0_19identity_decomposerEEEEEvT0_T1_T2_T3_T4_SL_T5_
    .private_segment_fixed_size: 0
    .sgpr_count:     28
    .sgpr_spill_count: 0
    .symbol:         _ZN7rocprim17ROCPRIM_304000_NS6detail33device_block_merge_oddeven_kernelINS1_37wrapped_merge_sort_block_merge_configINS0_14default_configEiN2at4cuda3cub6detail10OpaqueTypeILi2EEEEEPiSC_PSA_SD_jNS1_19radix_merge_compareILb1ELb0EiNS0_19identity_decomposerEEEEEvT0_T1_T2_T3_T4_SL_T5_.kd
    .uniform_work_group_size: 1
    .uses_dynamic_stack: false
    .vgpr_count:     10
    .vgpr_spill_count: 0
    .wavefront_size: 64
  - .agpr_count:     0
    .args:
      - .address_space:  global
        .offset:         0
        .size:           8
        .value_kind:     global_buffer
      - .offset:         8
        .size:           8
        .value_kind:     by_value
      - .address_space:  global
        .offset:         16
        .size:           8
        .value_kind:     global_buffer
      - .offset:         24
        .size:           1
        .value_kind:     by_value
      - .offset:         32
        .size:           4
        .value_kind:     hidden_block_count_x
      - .offset:         36
        .size:           4
        .value_kind:     hidden_block_count_y
      - .offset:         40
        .size:           4
        .value_kind:     hidden_block_count_z
      - .offset:         44
        .size:           2
        .value_kind:     hidden_group_size_x
      - .offset:         46
        .size:           2
        .value_kind:     hidden_group_size_y
      - .offset:         48
        .size:           2
        .value_kind:     hidden_group_size_z
      - .offset:         50
        .size:           2
        .value_kind:     hidden_remainder_x
      - .offset:         52
        .size:           2
        .value_kind:     hidden_remainder_y
      - .offset:         54
        .size:           2
        .value_kind:     hidden_remainder_z
      - .offset:         72
        .size:           8
        .value_kind:     hidden_global_offset_x
      - .offset:         80
        .size:           8
        .value_kind:     hidden_global_offset_y
      - .offset:         88
        .size:           8
        .value_kind:     hidden_global_offset_z
      - .offset:         96
        .size:           2
        .value_kind:     hidden_grid_dims
    .group_segment_fixed_size: 0
    .kernarg_segment_align: 8
    .kernarg_segment_size: 288
    .language:       OpenCL C
    .language_version:
      - 2
      - 0
    .max_flat_workgroup_size: 128
    .name:           _ZN7rocprim17ROCPRIM_304000_NS6detail16transform_kernelINS1_24wrapped_transform_configINS0_14default_configEiEEiPiS6_NS0_8identityIiEEEEvT1_mT2_T3_
    .private_segment_fixed_size: 0
    .sgpr_count:     18
    .sgpr_spill_count: 0
    .symbol:         _ZN7rocprim17ROCPRIM_304000_NS6detail16transform_kernelINS1_24wrapped_transform_configINS0_14default_configEiEEiPiS6_NS0_8identityIiEEEEvT1_mT2_T3_.kd
    .uniform_work_group_size: 1
    .uses_dynamic_stack: false
    .vgpr_count:     10
    .vgpr_spill_count: 0
    .wavefront_size: 64
  - .agpr_count:     0
    .args:
      - .address_space:  global
        .offset:         0
        .size:           8
        .value_kind:     global_buffer
      - .offset:         8
        .size:           8
        .value_kind:     by_value
      - .address_space:  global
        .offset:         16
        .size:           8
        .value_kind:     global_buffer
      - .offset:         24
        .size:           1
        .value_kind:     by_value
      - .offset:         32
        .size:           4
        .value_kind:     hidden_block_count_x
      - .offset:         36
        .size:           4
        .value_kind:     hidden_block_count_y
      - .offset:         40
        .size:           4
        .value_kind:     hidden_block_count_z
      - .offset:         44
        .size:           2
        .value_kind:     hidden_group_size_x
      - .offset:         46
        .size:           2
        .value_kind:     hidden_group_size_y
      - .offset:         48
        .size:           2
        .value_kind:     hidden_group_size_z
      - .offset:         50
        .size:           2
        .value_kind:     hidden_remainder_x
      - .offset:         52
        .size:           2
        .value_kind:     hidden_remainder_y
      - .offset:         54
        .size:           2
        .value_kind:     hidden_remainder_z
      - .offset:         72
        .size:           8
        .value_kind:     hidden_global_offset_x
      - .offset:         80
        .size:           8
        .value_kind:     hidden_global_offset_y
      - .offset:         88
        .size:           8
        .value_kind:     hidden_global_offset_z
      - .offset:         96
        .size:           2
        .value_kind:     hidden_grid_dims
    .group_segment_fixed_size: 0
    .kernarg_segment_align: 8
    .kernarg_segment_size: 288
    .language:       OpenCL C
    .language_version:
      - 2
      - 0
    .max_flat_workgroup_size: 128
    .name:           _ZN7rocprim17ROCPRIM_304000_NS6detail16transform_kernelINS1_24wrapped_transform_configINS0_14default_configEN2at4cuda3cub6detail10OpaqueTypeILi2EEEEESA_PSA_SC_NS0_8identityISA_EEEEvT1_mT2_T3_
    .private_segment_fixed_size: 0
    .sgpr_count:     18
    .sgpr_spill_count: 0
    .symbol:         _ZN7rocprim17ROCPRIM_304000_NS6detail16transform_kernelINS1_24wrapped_transform_configINS0_14default_configEN2at4cuda3cub6detail10OpaqueTypeILi2EEEEESA_PSA_SC_NS0_8identityISA_EEEEvT1_mT2_T3_.kd
    .uniform_work_group_size: 1
    .uses_dynamic_stack: false
    .vgpr_count:     10
    .vgpr_spill_count: 0
    .wavefront_size: 64
  - .agpr_count:     0
    .args:
      - .address_space:  global
        .offset:         0
        .size:           8
        .value_kind:     global_buffer
      - .offset:         8
        .size:           4
        .value_kind:     by_value
      - .offset:         12
        .size:           4
        .value_kind:     by_value
      - .address_space:  global
        .offset:         16
        .size:           8
        .value_kind:     global_buffer
      - .offset:         24
        .size:           4
        .value_kind:     by_value
      - .offset:         28
        .size:           4
        .value_kind:     by_value
    .group_segment_fixed_size: 0
    .kernarg_segment_align: 8
    .kernarg_segment_size: 32
    .language:       OpenCL C
    .language_version:
      - 2
      - 0
    .max_flat_workgroup_size: 128
    .name:           _ZN7rocprim17ROCPRIM_304000_NS6detail45device_block_merge_mergepath_partition_kernelINS1_37wrapped_merge_sort_block_merge_configINS0_14default_configEiN2at4cuda3cub6detail10OpaqueTypeILi2EEEEEPijNS1_19radix_merge_compareILb1ELb1EiNS0_19identity_decomposerEEEEEvT0_T1_jPSH_T2_SH_
    .private_segment_fixed_size: 0
    .sgpr_count:     14
    .sgpr_spill_count: 0
    .symbol:         _ZN7rocprim17ROCPRIM_304000_NS6detail45device_block_merge_mergepath_partition_kernelINS1_37wrapped_merge_sort_block_merge_configINS0_14default_configEiN2at4cuda3cub6detail10OpaqueTypeILi2EEEEEPijNS1_19radix_merge_compareILb1ELb1EiNS0_19identity_decomposerEEEEEvT0_T1_jPSH_T2_SH_.kd
    .uniform_work_group_size: 1
    .uses_dynamic_stack: false
    .vgpr_count:     17
    .vgpr_spill_count: 0
    .wavefront_size: 64
  - .agpr_count:     0
    .args:
      - .address_space:  global
        .offset:         0
        .size:           8
        .value_kind:     global_buffer
      - .address_space:  global
        .offset:         8
        .size:           8
        .value_kind:     global_buffer
      - .address_space:  global
        .offset:         16
        .size:           8
        .value_kind:     global_buffer
      - .address_space:  global
        .offset:         24
        .size:           8
        .value_kind:     global_buffer
      - .offset:         32
        .size:           4
        .value_kind:     by_value
      - .offset:         36
        .size:           4
        .value_kind:     by_value
      - .offset:         40
        .size:           4
        .value_kind:     by_value
      - .offset:         44
        .size:           4
        .value_kind:     by_value
      - .address_space:  global
        .offset:         48
        .size:           8
        .value_kind:     global_buffer
      - .address_space:  global
        .offset:         56
        .size:           8
        .value_kind:     global_buffer
      - .offset:         64
        .size:           4
        .value_kind:     hidden_block_count_x
      - .offset:         68
        .size:           4
        .value_kind:     hidden_block_count_y
      - .offset:         72
        .size:           4
        .value_kind:     hidden_block_count_z
      - .offset:         76
        .size:           2
        .value_kind:     hidden_group_size_x
      - .offset:         78
        .size:           2
        .value_kind:     hidden_group_size_y
      - .offset:         80
        .size:           2
        .value_kind:     hidden_group_size_z
      - .offset:         82
        .size:           2
        .value_kind:     hidden_remainder_x
      - .offset:         84
        .size:           2
        .value_kind:     hidden_remainder_y
      - .offset:         86
        .size:           2
        .value_kind:     hidden_remainder_z
      - .offset:         104
        .size:           8
        .value_kind:     hidden_global_offset_x
      - .offset:         112
        .size:           8
        .value_kind:     hidden_global_offset_y
      - .offset:         120
        .size:           8
        .value_kind:     hidden_global_offset_z
      - .offset:         128
        .size:           2
        .value_kind:     hidden_grid_dims
    .group_segment_fixed_size: 4224
    .kernarg_segment_align: 8
    .kernarg_segment_size: 320
    .language:       OpenCL C
    .language_version:
      - 2
      - 0
    .max_flat_workgroup_size: 256
    .name:           _ZN7rocprim17ROCPRIM_304000_NS6detail35device_block_merge_mergepath_kernelINS1_37wrapped_merge_sort_block_merge_configINS0_14default_configEiN2at4cuda3cub6detail10OpaqueTypeILi2EEEEEPiSC_PSA_SD_jNS1_19radix_merge_compareILb1ELb1EiNS0_19identity_decomposerEEEEEvT0_T1_T2_T3_T4_SL_jT5_PKSL_NS1_7vsmem_tE
    .private_segment_fixed_size: 0
    .sgpr_count:     38
    .sgpr_spill_count: 0
    .symbol:         _ZN7rocprim17ROCPRIM_304000_NS6detail35device_block_merge_mergepath_kernelINS1_37wrapped_merge_sort_block_merge_configINS0_14default_configEiN2at4cuda3cub6detail10OpaqueTypeILi2EEEEEPiSC_PSA_SD_jNS1_19radix_merge_compareILb1ELb1EiNS0_19identity_decomposerEEEEEvT0_T1_T2_T3_T4_SL_jT5_PKSL_NS1_7vsmem_tE.kd
    .uniform_work_group_size: 1
    .uses_dynamic_stack: false
    .vgpr_count:     22
    .vgpr_spill_count: 0
    .wavefront_size: 64
  - .agpr_count:     0
    .args:
      - .address_space:  global
        .offset:         0
        .size:           8
        .value_kind:     global_buffer
      - .address_space:  global
        .offset:         8
        .size:           8
        .value_kind:     global_buffer
      - .address_space:  global
        .offset:         16
        .size:           8
        .value_kind:     global_buffer
      - .address_space:  global
        .offset:         24
        .size:           8
        .value_kind:     global_buffer
      - .offset:         32
        .size:           4
        .value_kind:     by_value
      - .offset:         36
        .size:           4
        .value_kind:     by_value
      - .offset:         40
        .size:           4
        .value_kind:     by_value
    .group_segment_fixed_size: 0
    .kernarg_segment_align: 8
    .kernarg_segment_size: 44
    .language:       OpenCL C
    .language_version:
      - 2
      - 0
    .max_flat_workgroup_size: 256
    .name:           _ZN7rocprim17ROCPRIM_304000_NS6detail33device_block_merge_oddeven_kernelINS1_37wrapped_merge_sort_block_merge_configINS0_14default_configEiN2at4cuda3cub6detail10OpaqueTypeILi2EEEEEPiSC_PSA_SD_jNS1_19radix_merge_compareILb1ELb1EiNS0_19identity_decomposerEEEEEvT0_T1_T2_T3_T4_SL_T5_
    .private_segment_fixed_size: 0
    .sgpr_count:     30
    .sgpr_spill_count: 0
    .symbol:         _ZN7rocprim17ROCPRIM_304000_NS6detail33device_block_merge_oddeven_kernelINS1_37wrapped_merge_sort_block_merge_configINS0_14default_configEiN2at4cuda3cub6detail10OpaqueTypeILi2EEEEEPiSC_PSA_SD_jNS1_19radix_merge_compareILb1ELb1EiNS0_19identity_decomposerEEEEEvT0_T1_T2_T3_T4_SL_T5_.kd
    .uniform_work_group_size: 1
    .uses_dynamic_stack: false
    .vgpr_count:     11
    .vgpr_spill_count: 0
    .wavefront_size: 64
  - .agpr_count:     0
    .args:
      - .address_space:  global
        .offset:         0
        .size:           8
        .value_kind:     global_buffer
      - .address_space:  global
        .offset:         8
        .size:           8
        .value_kind:     global_buffer
      - .offset:         16
        .size:           8
        .value_kind:     by_value
      - .offset:         24
        .size:           8
        .value_kind:     by_value
      - .offset:         32
        .size:           1
        .value_kind:     by_value
      - .offset:         36
        .size:           4
        .value_kind:     by_value
      - .offset:         40
        .size:           4
        .value_kind:     by_value
    .group_segment_fixed_size: 16384
    .kernarg_segment_align: 8
    .kernarg_segment_size: 44
    .language:       OpenCL C
    .language_version:
      - 2
      - 0
    .max_flat_workgroup_size: 256
    .name:           _ZN7rocprim17ROCPRIM_304000_NS6detail26onesweep_histograms_kernelINS1_34wrapped_radix_sort_onesweep_configINS0_14default_configEiN2at4cuda3cub6detail10OpaqueTypeILi2EEEEELb1EPKimNS0_19identity_decomposerEEEvT1_PT2_SG_SG_T3_jj
    .private_segment_fixed_size: 0
    .sgpr_count:     53
    .sgpr_spill_count: 0
    .symbol:         _ZN7rocprim17ROCPRIM_304000_NS6detail26onesweep_histograms_kernelINS1_34wrapped_radix_sort_onesweep_configINS0_14default_configEiN2at4cuda3cub6detail10OpaqueTypeILi2EEEEELb1EPKimNS0_19identity_decomposerEEEvT1_PT2_SG_SG_T3_jj.kd
    .uniform_work_group_size: 1
    .uses_dynamic_stack: false
    .vgpr_count:     26
    .vgpr_spill_count: 0
    .wavefront_size: 64
  - .agpr_count:     0
    .args:
      - .address_space:  global
        .offset:         0
        .size:           8
        .value_kind:     global_buffer
    .group_segment_fixed_size: 32
    .kernarg_segment_align: 8
    .kernarg_segment_size: 8
    .language:       OpenCL C
    .language_version:
      - 2
      - 0
    .max_flat_workgroup_size: 256
    .name:           _ZN7rocprim17ROCPRIM_304000_NS6detail31onesweep_scan_histograms_kernelINS1_34wrapped_radix_sort_onesweep_configINS0_14default_configEiN2at4cuda3cub6detail10OpaqueTypeILi2EEEEEmEEvPT0_
    .private_segment_fixed_size: 0
    .sgpr_count:     16
    .sgpr_spill_count: 0
    .symbol:         _ZN7rocprim17ROCPRIM_304000_NS6detail31onesweep_scan_histograms_kernelINS1_34wrapped_radix_sort_onesweep_configINS0_14default_configEiN2at4cuda3cub6detail10OpaqueTypeILi2EEEEEmEEvPT0_.kd
    .uniform_work_group_size: 1
    .uses_dynamic_stack: false
    .vgpr_count:     14
    .vgpr_spill_count: 0
    .wavefront_size: 64
  - .agpr_count:     0
    .args:
      - .address_space:  global
        .offset:         0
        .size:           8
        .value_kind:     global_buffer
      - .offset:         8
        .size:           8
        .value_kind:     by_value
      - .address_space:  global
        .offset:         16
        .size:           8
        .value_kind:     global_buffer
      - .offset:         24
        .size:           1
        .value_kind:     by_value
      - .offset:         32
        .size:           4
        .value_kind:     hidden_block_count_x
      - .offset:         36
        .size:           4
        .value_kind:     hidden_block_count_y
      - .offset:         40
        .size:           4
        .value_kind:     hidden_block_count_z
      - .offset:         44
        .size:           2
        .value_kind:     hidden_group_size_x
      - .offset:         46
        .size:           2
        .value_kind:     hidden_group_size_y
      - .offset:         48
        .size:           2
        .value_kind:     hidden_group_size_z
      - .offset:         50
        .size:           2
        .value_kind:     hidden_remainder_x
      - .offset:         52
        .size:           2
        .value_kind:     hidden_remainder_y
      - .offset:         54
        .size:           2
        .value_kind:     hidden_remainder_z
      - .offset:         72
        .size:           8
        .value_kind:     hidden_global_offset_x
      - .offset:         80
        .size:           8
        .value_kind:     hidden_global_offset_y
      - .offset:         88
        .size:           8
        .value_kind:     hidden_global_offset_z
      - .offset:         96
        .size:           2
        .value_kind:     hidden_grid_dims
    .group_segment_fixed_size: 0
    .kernarg_segment_align: 8
    .kernarg_segment_size: 288
    .language:       OpenCL C
    .language_version:
      - 2
      - 0
    .max_flat_workgroup_size: 128
    .name:           _ZN7rocprim17ROCPRIM_304000_NS6detail16transform_kernelINS1_24wrapped_transform_configINS0_14default_configEiEEiPKiPiNS0_8identityIiEEEEvT1_mT2_T3_
    .private_segment_fixed_size: 0
    .sgpr_count:     18
    .sgpr_spill_count: 0
    .symbol:         _ZN7rocprim17ROCPRIM_304000_NS6detail16transform_kernelINS1_24wrapped_transform_configINS0_14default_configEiEEiPKiPiNS0_8identityIiEEEEvT1_mT2_T3_.kd
    .uniform_work_group_size: 1
    .uses_dynamic_stack: false
    .vgpr_count:     10
    .vgpr_spill_count: 0
    .wavefront_size: 64
  - .agpr_count:     0
    .args:
      - .address_space:  global
        .offset:         0
        .size:           8
        .value_kind:     global_buffer
      - .offset:         8
        .size:           8
        .value_kind:     by_value
      - .address_space:  global
        .offset:         16
        .size:           8
        .value_kind:     global_buffer
      - .offset:         24
        .size:           1
        .value_kind:     by_value
      - .offset:         32
        .size:           4
        .value_kind:     hidden_block_count_x
      - .offset:         36
        .size:           4
        .value_kind:     hidden_block_count_y
      - .offset:         40
        .size:           4
        .value_kind:     hidden_block_count_z
      - .offset:         44
        .size:           2
        .value_kind:     hidden_group_size_x
      - .offset:         46
        .size:           2
        .value_kind:     hidden_group_size_y
      - .offset:         48
        .size:           2
        .value_kind:     hidden_group_size_z
      - .offset:         50
        .size:           2
        .value_kind:     hidden_remainder_x
      - .offset:         52
        .size:           2
        .value_kind:     hidden_remainder_y
      - .offset:         54
        .size:           2
        .value_kind:     hidden_remainder_z
      - .offset:         72
        .size:           8
        .value_kind:     hidden_global_offset_x
      - .offset:         80
        .size:           8
        .value_kind:     hidden_global_offset_y
      - .offset:         88
        .size:           8
        .value_kind:     hidden_global_offset_z
      - .offset:         96
        .size:           2
        .value_kind:     hidden_grid_dims
    .group_segment_fixed_size: 0
    .kernarg_segment_align: 8
    .kernarg_segment_size: 288
    .language:       OpenCL C
    .language_version:
      - 2
      - 0
    .max_flat_workgroup_size: 128
    .name:           _ZN7rocprim17ROCPRIM_304000_NS6detail16transform_kernelINS1_24wrapped_transform_configINS0_14default_configEN2at4cuda3cub6detail10OpaqueTypeILi2EEEEESA_PKSA_PSA_NS0_8identityISA_EEEEvT1_mT2_T3_
    .private_segment_fixed_size: 0
    .sgpr_count:     18
    .sgpr_spill_count: 0
    .symbol:         _ZN7rocprim17ROCPRIM_304000_NS6detail16transform_kernelINS1_24wrapped_transform_configINS0_14default_configEN2at4cuda3cub6detail10OpaqueTypeILi2EEEEESA_PKSA_PSA_NS0_8identityISA_EEEEvT1_mT2_T3_.kd
    .uniform_work_group_size: 1
    .uses_dynamic_stack: false
    .vgpr_count:     10
    .vgpr_spill_count: 0
    .wavefront_size: 64
  - .agpr_count:     0
    .args:
      - .address_space:  global
        .offset:         0
        .size:           8
        .value_kind:     global_buffer
      - .address_space:  global
        .offset:         8
        .size:           8
        .value_kind:     global_buffer
      - .address_space:  global
        .offset:         16
        .size:           8
        .value_kind:     global_buffer
      - .address_space:  global
        .offset:         24
        .size:           8
        .value_kind:     global_buffer
      - .offset:         32
        .size:           4
        .value_kind:     by_value
      - .address_space:  global
        .offset:         40
        .size:           8
        .value_kind:     global_buffer
      - .address_space:  global
        .offset:         48
        .size:           8
        .value_kind:     global_buffer
      - .address_space:  global
        .offset:         56
        .size:           8
        .value_kind:     global_buffer
      - .offset:         64
        .size:           1
        .value_kind:     by_value
      - .offset:         68
        .size:           4
        .value_kind:     by_value
      - .offset:         72
        .size:           4
        .value_kind:     by_value
      - .offset:         76
        .size:           4
        .value_kind:     by_value
      - .offset:         80
        .size:           4
        .value_kind:     hidden_block_count_x
      - .offset:         84
        .size:           4
        .value_kind:     hidden_block_count_y
      - .offset:         88
        .size:           4
        .value_kind:     hidden_block_count_z
      - .offset:         92
        .size:           2
        .value_kind:     hidden_group_size_x
      - .offset:         94
        .size:           2
        .value_kind:     hidden_group_size_y
      - .offset:         96
        .size:           2
        .value_kind:     hidden_group_size_z
      - .offset:         98
        .size:           2
        .value_kind:     hidden_remainder_x
      - .offset:         100
        .size:           2
        .value_kind:     hidden_remainder_y
      - .offset:         102
        .size:           2
        .value_kind:     hidden_remainder_z
      - .offset:         120
        .size:           8
        .value_kind:     hidden_global_offset_x
      - .offset:         128
        .size:           8
        .value_kind:     hidden_global_offset_y
      - .offset:         136
        .size:           8
        .value_kind:     hidden_global_offset_z
      - .offset:         144
        .size:           2
        .value_kind:     hidden_grid_dims
    .group_segment_fixed_size: 18432
    .kernarg_segment_align: 8
    .kernarg_segment_size: 336
    .language:       OpenCL C
    .language_version:
      - 2
      - 0
    .max_flat_workgroup_size: 256
    .name:           _ZN7rocprim17ROCPRIM_304000_NS6detail25onesweep_iteration_kernelINS1_34wrapped_radix_sort_onesweep_configINS0_14default_configEiN2at4cuda3cub6detail10OpaqueTypeILi2EEEEELb1EPKiPiPKSA_PSA_mNS0_19identity_decomposerEEEvT1_T2_T3_T4_jPT5_SO_PNS1_23onesweep_lookback_stateET6_jjj
    .private_segment_fixed_size: 0
    .sgpr_count:     95
    .sgpr_spill_count: 0
    .symbol:         _ZN7rocprim17ROCPRIM_304000_NS6detail25onesweep_iteration_kernelINS1_34wrapped_radix_sort_onesweep_configINS0_14default_configEiN2at4cuda3cub6detail10OpaqueTypeILi2EEEEELb1EPKiPiPKSA_PSA_mNS0_19identity_decomposerEEEvT1_T2_T3_T4_jPT5_SO_PNS1_23onesweep_lookback_stateET6_jjj.kd
    .uniform_work_group_size: 1
    .uses_dynamic_stack: false
    .vgpr_count:     79
    .vgpr_spill_count: 0
    .wavefront_size: 64
  - .agpr_count:     0
    .args:
      - .address_space:  global
        .offset:         0
        .size:           8
        .value_kind:     global_buffer
      - .address_space:  global
        .offset:         8
        .size:           8
        .value_kind:     global_buffer
      - .address_space:  global
        .offset:         16
        .size:           8
        .value_kind:     global_buffer
      - .address_space:  global
        .offset:         24
        .size:           8
        .value_kind:     global_buffer
      - .offset:         32
        .size:           4
        .value_kind:     by_value
      - .address_space:  global
        .offset:         40
        .size:           8
        .value_kind:     global_buffer
      - .address_space:  global
        .offset:         48
        .size:           8
        .value_kind:     global_buffer
      - .address_space:  global
        .offset:         56
        .size:           8
        .value_kind:     global_buffer
      - .offset:         64
        .size:           1
        .value_kind:     by_value
      - .offset:         68
        .size:           4
        .value_kind:     by_value
      - .offset:         72
        .size:           4
        .value_kind:     by_value
      - .offset:         76
        .size:           4
        .value_kind:     by_value
      - .offset:         80
        .size:           4
        .value_kind:     hidden_block_count_x
      - .offset:         84
        .size:           4
        .value_kind:     hidden_block_count_y
      - .offset:         88
        .size:           4
        .value_kind:     hidden_block_count_z
      - .offset:         92
        .size:           2
        .value_kind:     hidden_group_size_x
      - .offset:         94
        .size:           2
        .value_kind:     hidden_group_size_y
      - .offset:         96
        .size:           2
        .value_kind:     hidden_group_size_z
      - .offset:         98
        .size:           2
        .value_kind:     hidden_remainder_x
      - .offset:         100
        .size:           2
        .value_kind:     hidden_remainder_y
      - .offset:         102
        .size:           2
        .value_kind:     hidden_remainder_z
      - .offset:         120
        .size:           8
        .value_kind:     hidden_global_offset_x
      - .offset:         128
        .size:           8
        .value_kind:     hidden_global_offset_y
      - .offset:         136
        .size:           8
        .value_kind:     hidden_global_offset_z
      - .offset:         144
        .size:           2
        .value_kind:     hidden_grid_dims
    .group_segment_fixed_size: 18432
    .kernarg_segment_align: 8
    .kernarg_segment_size: 336
    .language:       OpenCL C
    .language_version:
      - 2
      - 0
    .max_flat_workgroup_size: 256
    .name:           _ZN7rocprim17ROCPRIM_304000_NS6detail25onesweep_iteration_kernelINS1_34wrapped_radix_sort_onesweep_configINS0_14default_configEiN2at4cuda3cub6detail10OpaqueTypeILi2EEEEELb1EPiSC_PSA_SD_mNS0_19identity_decomposerEEEvT1_T2_T3_T4_jPT5_SK_PNS1_23onesweep_lookback_stateET6_jjj
    .private_segment_fixed_size: 0
    .sgpr_count:     95
    .sgpr_spill_count: 0
    .symbol:         _ZN7rocprim17ROCPRIM_304000_NS6detail25onesweep_iteration_kernelINS1_34wrapped_radix_sort_onesweep_configINS0_14default_configEiN2at4cuda3cub6detail10OpaqueTypeILi2EEEEELb1EPiSC_PSA_SD_mNS0_19identity_decomposerEEEvT1_T2_T3_T4_jPT5_SK_PNS1_23onesweep_lookback_stateET6_jjj.kd
    .uniform_work_group_size: 1
    .uses_dynamic_stack: false
    .vgpr_count:     79
    .vgpr_spill_count: 0
    .wavefront_size: 64
  - .agpr_count:     0
    .args:
      - .address_space:  global
        .offset:         0
        .size:           8
        .value_kind:     global_buffer
      - .address_space:  global
        .offset:         8
        .size:           8
        .value_kind:     global_buffer
      - .address_space:  global
        .offset:         16
        .size:           8
        .value_kind:     global_buffer
      - .address_space:  global
        .offset:         24
        .size:           8
        .value_kind:     global_buffer
      - .offset:         32
        .size:           4
        .value_kind:     by_value
      - .offset:         36
        .size:           1
        .value_kind:     by_value
      - .offset:         40
        .size:           4
        .value_kind:     by_value
      - .offset:         44
        .size:           4
        .value_kind:     by_value
      - .offset:         48
        .size:           4
        .value_kind:     hidden_block_count_x
      - .offset:         52
        .size:           4
        .value_kind:     hidden_block_count_y
      - .offset:         56
        .size:           4
        .value_kind:     hidden_block_count_z
      - .offset:         60
        .size:           2
        .value_kind:     hidden_group_size_x
      - .offset:         62
        .size:           2
        .value_kind:     hidden_group_size_y
      - .offset:         64
        .size:           2
        .value_kind:     hidden_group_size_z
      - .offset:         66
        .size:           2
        .value_kind:     hidden_remainder_x
      - .offset:         68
        .size:           2
        .value_kind:     hidden_remainder_y
      - .offset:         70
        .size:           2
        .value_kind:     hidden_remainder_z
      - .offset:         88
        .size:           8
        .value_kind:     hidden_global_offset_x
      - .offset:         96
        .size:           8
        .value_kind:     hidden_global_offset_y
      - .offset:         104
        .size:           8
        .value_kind:     hidden_global_offset_z
      - .offset:         112
        .size:           2
        .value_kind:     hidden_grid_dims
    .group_segment_fixed_size: 4112
    .kernarg_segment_align: 8
    .kernarg_segment_size: 304
    .language:       OpenCL C
    .language_version:
      - 2
      - 0
    .max_flat_workgroup_size: 256
    .name:           _ZN7rocprim17ROCPRIM_304000_NS6detail28radix_sort_block_sort_kernelINS1_36wrapped_radix_sort_block_sort_configINS0_13kernel_configILj256ELj4ELj4294967295EEEiN2at4cuda3cub6detail10OpaqueTypeILi2EEEEELb0EPKiPiPKSB_PSB_NS0_19identity_decomposerEEEvT1_T2_T3_T4_jT5_jj
    .private_segment_fixed_size: 0
    .sgpr_count:     52
    .sgpr_spill_count: 0
    .symbol:         _ZN7rocprim17ROCPRIM_304000_NS6detail28radix_sort_block_sort_kernelINS1_36wrapped_radix_sort_block_sort_configINS0_13kernel_configILj256ELj4ELj4294967295EEEiN2at4cuda3cub6detail10OpaqueTypeILi2EEEEELb0EPKiPiPKSB_PSB_NS0_19identity_decomposerEEEvT1_T2_T3_T4_jT5_jj.kd
    .uniform_work_group_size: 1
    .uses_dynamic_stack: false
    .vgpr_count:     47
    .vgpr_spill_count: 0
    .wavefront_size: 64
  - .agpr_count:     0
    .args:
      - .address_space:  global
        .offset:         0
        .size:           8
        .value_kind:     global_buffer
      - .offset:         8
        .size:           4
        .value_kind:     by_value
      - .offset:         12
        .size:           4
        .value_kind:     by_value
      - .address_space:  global
        .offset:         16
        .size:           8
        .value_kind:     global_buffer
      - .offset:         24
        .size:           1
        .value_kind:     by_value
      - .offset:         28
        .size:           4
        .value_kind:     by_value
    .group_segment_fixed_size: 0
    .kernarg_segment_align: 8
    .kernarg_segment_size: 32
    .language:       OpenCL C
    .language_version:
      - 2
      - 0
    .max_flat_workgroup_size: 128
    .name:           _ZN7rocprim17ROCPRIM_304000_NS6detail45device_block_merge_mergepath_partition_kernelINS1_37wrapped_merge_sort_block_merge_configINS0_14default_configEiN2at4cuda3cub6detail10OpaqueTypeILi2EEEEEPijNS1_19radix_merge_compareILb0ELb0EiNS0_19identity_decomposerEEEEEvT0_T1_jPSH_T2_SH_
    .private_segment_fixed_size: 0
    .sgpr_count:     12
    .sgpr_spill_count: 0
    .symbol:         _ZN7rocprim17ROCPRIM_304000_NS6detail45device_block_merge_mergepath_partition_kernelINS1_37wrapped_merge_sort_block_merge_configINS0_14default_configEiN2at4cuda3cub6detail10OpaqueTypeILi2EEEEEPijNS1_19radix_merge_compareILb0ELb0EiNS0_19identity_decomposerEEEEEvT0_T1_jPSH_T2_SH_.kd
    .uniform_work_group_size: 1
    .uses_dynamic_stack: false
    .vgpr_count:     17
    .vgpr_spill_count: 0
    .wavefront_size: 64
  - .agpr_count:     0
    .args:
      - .address_space:  global
        .offset:         0
        .size:           8
        .value_kind:     global_buffer
      - .address_space:  global
        .offset:         8
        .size:           8
        .value_kind:     global_buffer
      - .address_space:  global
        .offset:         16
        .size:           8
        .value_kind:     global_buffer
      - .address_space:  global
        .offset:         24
        .size:           8
        .value_kind:     global_buffer
      - .offset:         32
        .size:           4
        .value_kind:     by_value
      - .offset:         36
        .size:           4
        .value_kind:     by_value
      - .offset:         40
        .size:           4
        .value_kind:     by_value
      - .offset:         44
        .size:           1
        .value_kind:     by_value
      - .address_space:  global
        .offset:         48
        .size:           8
        .value_kind:     global_buffer
      - .address_space:  global
        .offset:         56
        .size:           8
        .value_kind:     global_buffer
      - .offset:         64
        .size:           4
        .value_kind:     hidden_block_count_x
      - .offset:         68
        .size:           4
        .value_kind:     hidden_block_count_y
      - .offset:         72
        .size:           4
        .value_kind:     hidden_block_count_z
      - .offset:         76
        .size:           2
        .value_kind:     hidden_group_size_x
      - .offset:         78
        .size:           2
        .value_kind:     hidden_group_size_y
      - .offset:         80
        .size:           2
        .value_kind:     hidden_group_size_z
      - .offset:         82
        .size:           2
        .value_kind:     hidden_remainder_x
      - .offset:         84
        .size:           2
        .value_kind:     hidden_remainder_y
      - .offset:         86
        .size:           2
        .value_kind:     hidden_remainder_z
      - .offset:         104
        .size:           8
        .value_kind:     hidden_global_offset_x
      - .offset:         112
        .size:           8
        .value_kind:     hidden_global_offset_y
      - .offset:         120
        .size:           8
        .value_kind:     hidden_global_offset_z
      - .offset:         128
        .size:           2
        .value_kind:     hidden_grid_dims
    .group_segment_fixed_size: 4224
    .kernarg_segment_align: 8
    .kernarg_segment_size: 320
    .language:       OpenCL C
    .language_version:
      - 2
      - 0
    .max_flat_workgroup_size: 256
    .name:           _ZN7rocprim17ROCPRIM_304000_NS6detail35device_block_merge_mergepath_kernelINS1_37wrapped_merge_sort_block_merge_configINS0_14default_configEiN2at4cuda3cub6detail10OpaqueTypeILi2EEEEEPiSC_PSA_SD_jNS1_19radix_merge_compareILb0ELb0EiNS0_19identity_decomposerEEEEEvT0_T1_T2_T3_T4_SL_jT5_PKSL_NS1_7vsmem_tE
    .private_segment_fixed_size: 0
    .sgpr_count:     37
    .sgpr_spill_count: 0
    .symbol:         _ZN7rocprim17ROCPRIM_304000_NS6detail35device_block_merge_mergepath_kernelINS1_37wrapped_merge_sort_block_merge_configINS0_14default_configEiN2at4cuda3cub6detail10OpaqueTypeILi2EEEEEPiSC_PSA_SD_jNS1_19radix_merge_compareILb0ELb0EiNS0_19identity_decomposerEEEEEvT0_T1_T2_T3_T4_SL_jT5_PKSL_NS1_7vsmem_tE.kd
    .uniform_work_group_size: 1
    .uses_dynamic_stack: false
    .vgpr_count:     22
    .vgpr_spill_count: 0
    .wavefront_size: 64
  - .agpr_count:     0
    .args:
      - .address_space:  global
        .offset:         0
        .size:           8
        .value_kind:     global_buffer
      - .address_space:  global
        .offset:         8
        .size:           8
        .value_kind:     global_buffer
      - .address_space:  global
        .offset:         16
        .size:           8
        .value_kind:     global_buffer
      - .address_space:  global
        .offset:         24
        .size:           8
        .value_kind:     global_buffer
      - .offset:         32
        .size:           4
        .value_kind:     by_value
      - .offset:         36
        .size:           4
        .value_kind:     by_value
      - .offset:         40
        .size:           1
        .value_kind:     by_value
    .group_segment_fixed_size: 0
    .kernarg_segment_align: 8
    .kernarg_segment_size: 44
    .language:       OpenCL C
    .language_version:
      - 2
      - 0
    .max_flat_workgroup_size: 256
    .name:           _ZN7rocprim17ROCPRIM_304000_NS6detail33device_block_merge_oddeven_kernelINS1_37wrapped_merge_sort_block_merge_configINS0_14default_configEiN2at4cuda3cub6detail10OpaqueTypeILi2EEEEEPiSC_PSA_SD_jNS1_19radix_merge_compareILb0ELb0EiNS0_19identity_decomposerEEEEEvT0_T1_T2_T3_T4_SL_T5_
    .private_segment_fixed_size: 0
    .sgpr_count:     28
    .sgpr_spill_count: 0
    .symbol:         _ZN7rocprim17ROCPRIM_304000_NS6detail33device_block_merge_oddeven_kernelINS1_37wrapped_merge_sort_block_merge_configINS0_14default_configEiN2at4cuda3cub6detail10OpaqueTypeILi2EEEEEPiSC_PSA_SD_jNS1_19radix_merge_compareILb0ELb0EiNS0_19identity_decomposerEEEEEvT0_T1_T2_T3_T4_SL_T5_.kd
    .uniform_work_group_size: 1
    .uses_dynamic_stack: false
    .vgpr_count:     10
    .vgpr_spill_count: 0
    .wavefront_size: 64
  - .agpr_count:     0
    .args:
      - .address_space:  global
        .offset:         0
        .size:           8
        .value_kind:     global_buffer
      - .offset:         8
        .size:           4
        .value_kind:     by_value
      - .offset:         12
        .size:           4
        .value_kind:     by_value
      - .address_space:  global
        .offset:         16
        .size:           8
        .value_kind:     global_buffer
      - .offset:         24
        .size:           4
        .value_kind:     by_value
      - .offset:         28
        .size:           4
        .value_kind:     by_value
    .group_segment_fixed_size: 0
    .kernarg_segment_align: 8
    .kernarg_segment_size: 32
    .language:       OpenCL C
    .language_version:
      - 2
      - 0
    .max_flat_workgroup_size: 128
    .name:           _ZN7rocprim17ROCPRIM_304000_NS6detail45device_block_merge_mergepath_partition_kernelINS1_37wrapped_merge_sort_block_merge_configINS0_14default_configEiN2at4cuda3cub6detail10OpaqueTypeILi2EEEEEPijNS1_19radix_merge_compareILb0ELb1EiNS0_19identity_decomposerEEEEEvT0_T1_jPSH_T2_SH_
    .private_segment_fixed_size: 0
    .sgpr_count:     14
    .sgpr_spill_count: 0
    .symbol:         _ZN7rocprim17ROCPRIM_304000_NS6detail45device_block_merge_mergepath_partition_kernelINS1_37wrapped_merge_sort_block_merge_configINS0_14default_configEiN2at4cuda3cub6detail10OpaqueTypeILi2EEEEEPijNS1_19radix_merge_compareILb0ELb1EiNS0_19identity_decomposerEEEEEvT0_T1_jPSH_T2_SH_.kd
    .uniform_work_group_size: 1
    .uses_dynamic_stack: false
    .vgpr_count:     17
    .vgpr_spill_count: 0
    .wavefront_size: 64
  - .agpr_count:     0
    .args:
      - .address_space:  global
        .offset:         0
        .size:           8
        .value_kind:     global_buffer
      - .address_space:  global
        .offset:         8
        .size:           8
        .value_kind:     global_buffer
      - .address_space:  global
        .offset:         16
        .size:           8
        .value_kind:     global_buffer
      - .address_space:  global
        .offset:         24
        .size:           8
        .value_kind:     global_buffer
      - .offset:         32
        .size:           4
        .value_kind:     by_value
      - .offset:         36
        .size:           4
        .value_kind:     by_value
      - .offset:         40
        .size:           4
        .value_kind:     by_value
      - .offset:         44
        .size:           4
        .value_kind:     by_value
      - .address_space:  global
        .offset:         48
        .size:           8
        .value_kind:     global_buffer
      - .address_space:  global
        .offset:         56
        .size:           8
        .value_kind:     global_buffer
      - .offset:         64
        .size:           4
        .value_kind:     hidden_block_count_x
      - .offset:         68
        .size:           4
        .value_kind:     hidden_block_count_y
      - .offset:         72
        .size:           4
        .value_kind:     hidden_block_count_z
      - .offset:         76
        .size:           2
        .value_kind:     hidden_group_size_x
      - .offset:         78
        .size:           2
        .value_kind:     hidden_group_size_y
      - .offset:         80
        .size:           2
        .value_kind:     hidden_group_size_z
      - .offset:         82
        .size:           2
        .value_kind:     hidden_remainder_x
      - .offset:         84
        .size:           2
        .value_kind:     hidden_remainder_y
      - .offset:         86
        .size:           2
        .value_kind:     hidden_remainder_z
      - .offset:         104
        .size:           8
        .value_kind:     hidden_global_offset_x
      - .offset:         112
        .size:           8
        .value_kind:     hidden_global_offset_y
      - .offset:         120
        .size:           8
        .value_kind:     hidden_global_offset_z
      - .offset:         128
        .size:           2
        .value_kind:     hidden_grid_dims
    .group_segment_fixed_size: 4224
    .kernarg_segment_align: 8
    .kernarg_segment_size: 320
    .language:       OpenCL C
    .language_version:
      - 2
      - 0
    .max_flat_workgroup_size: 256
    .name:           _ZN7rocprim17ROCPRIM_304000_NS6detail35device_block_merge_mergepath_kernelINS1_37wrapped_merge_sort_block_merge_configINS0_14default_configEiN2at4cuda3cub6detail10OpaqueTypeILi2EEEEEPiSC_PSA_SD_jNS1_19radix_merge_compareILb0ELb1EiNS0_19identity_decomposerEEEEEvT0_T1_T2_T3_T4_SL_jT5_PKSL_NS1_7vsmem_tE
    .private_segment_fixed_size: 0
    .sgpr_count:     38
    .sgpr_spill_count: 0
    .symbol:         _ZN7rocprim17ROCPRIM_304000_NS6detail35device_block_merge_mergepath_kernelINS1_37wrapped_merge_sort_block_merge_configINS0_14default_configEiN2at4cuda3cub6detail10OpaqueTypeILi2EEEEEPiSC_PSA_SD_jNS1_19radix_merge_compareILb0ELb1EiNS0_19identity_decomposerEEEEEvT0_T1_T2_T3_T4_SL_jT5_PKSL_NS1_7vsmem_tE.kd
    .uniform_work_group_size: 1
    .uses_dynamic_stack: false
    .vgpr_count:     22
    .vgpr_spill_count: 0
    .wavefront_size: 64
  - .agpr_count:     0
    .args:
      - .address_space:  global
        .offset:         0
        .size:           8
        .value_kind:     global_buffer
      - .address_space:  global
        .offset:         8
        .size:           8
        .value_kind:     global_buffer
      - .address_space:  global
        .offset:         16
        .size:           8
        .value_kind:     global_buffer
      - .address_space:  global
        .offset:         24
        .size:           8
        .value_kind:     global_buffer
      - .offset:         32
        .size:           4
        .value_kind:     by_value
      - .offset:         36
        .size:           4
        .value_kind:     by_value
      - .offset:         40
        .size:           4
        .value_kind:     by_value
    .group_segment_fixed_size: 0
    .kernarg_segment_align: 8
    .kernarg_segment_size: 44
    .language:       OpenCL C
    .language_version:
      - 2
      - 0
    .max_flat_workgroup_size: 256
    .name:           _ZN7rocprim17ROCPRIM_304000_NS6detail33device_block_merge_oddeven_kernelINS1_37wrapped_merge_sort_block_merge_configINS0_14default_configEiN2at4cuda3cub6detail10OpaqueTypeILi2EEEEEPiSC_PSA_SD_jNS1_19radix_merge_compareILb0ELb1EiNS0_19identity_decomposerEEEEEvT0_T1_T2_T3_T4_SL_T5_
    .private_segment_fixed_size: 0
    .sgpr_count:     30
    .sgpr_spill_count: 0
    .symbol:         _ZN7rocprim17ROCPRIM_304000_NS6detail33device_block_merge_oddeven_kernelINS1_37wrapped_merge_sort_block_merge_configINS0_14default_configEiN2at4cuda3cub6detail10OpaqueTypeILi2EEEEEPiSC_PSA_SD_jNS1_19radix_merge_compareILb0ELb1EiNS0_19identity_decomposerEEEEEvT0_T1_T2_T3_T4_SL_T5_.kd
    .uniform_work_group_size: 1
    .uses_dynamic_stack: false
    .vgpr_count:     11
    .vgpr_spill_count: 0
    .wavefront_size: 64
  - .agpr_count:     0
    .args:
      - .address_space:  global
        .offset:         0
        .size:           8
        .value_kind:     global_buffer
      - .address_space:  global
        .offset:         8
        .size:           8
        .value_kind:     global_buffer
      - .offset:         16
        .size:           8
        .value_kind:     by_value
      - .offset:         24
        .size:           8
        .value_kind:     by_value
      - .offset:         32
        .size:           1
        .value_kind:     by_value
      - .offset:         36
        .size:           4
        .value_kind:     by_value
      - .offset:         40
        .size:           4
        .value_kind:     by_value
    .group_segment_fixed_size: 16384
    .kernarg_segment_align: 8
    .kernarg_segment_size: 44
    .language:       OpenCL C
    .language_version:
      - 2
      - 0
    .max_flat_workgroup_size: 256
    .name:           _ZN7rocprim17ROCPRIM_304000_NS6detail26onesweep_histograms_kernelINS1_34wrapped_radix_sort_onesweep_configINS0_14default_configEiN2at4cuda3cub6detail10OpaqueTypeILi2EEEEELb0EPKimNS0_19identity_decomposerEEEvT1_PT2_SG_SG_T3_jj
    .private_segment_fixed_size: 0
    .sgpr_count:     53
    .sgpr_spill_count: 0
    .symbol:         _ZN7rocprim17ROCPRIM_304000_NS6detail26onesweep_histograms_kernelINS1_34wrapped_radix_sort_onesweep_configINS0_14default_configEiN2at4cuda3cub6detail10OpaqueTypeILi2EEEEELb0EPKimNS0_19identity_decomposerEEEvT1_PT2_SG_SG_T3_jj.kd
    .uniform_work_group_size: 1
    .uses_dynamic_stack: false
    .vgpr_count:     26
    .vgpr_spill_count: 0
    .wavefront_size: 64
  - .agpr_count:     0
    .args:
      - .address_space:  global
        .offset:         0
        .size:           8
        .value_kind:     global_buffer
      - .address_space:  global
        .offset:         8
        .size:           8
        .value_kind:     global_buffer
      - .address_space:  global
        .offset:         16
        .size:           8
        .value_kind:     global_buffer
      - .address_space:  global
        .offset:         24
        .size:           8
        .value_kind:     global_buffer
      - .offset:         32
        .size:           4
        .value_kind:     by_value
      - .address_space:  global
        .offset:         40
        .size:           8
        .value_kind:     global_buffer
      - .address_space:  global
        .offset:         48
        .size:           8
        .value_kind:     global_buffer
      - .address_space:  global
        .offset:         56
        .size:           8
        .value_kind:     global_buffer
      - .offset:         64
        .size:           1
        .value_kind:     by_value
      - .offset:         68
        .size:           4
        .value_kind:     by_value
      - .offset:         72
        .size:           4
        .value_kind:     by_value
      - .offset:         76
        .size:           4
        .value_kind:     by_value
      - .offset:         80
        .size:           4
        .value_kind:     hidden_block_count_x
      - .offset:         84
        .size:           4
        .value_kind:     hidden_block_count_y
      - .offset:         88
        .size:           4
        .value_kind:     hidden_block_count_z
      - .offset:         92
        .size:           2
        .value_kind:     hidden_group_size_x
      - .offset:         94
        .size:           2
        .value_kind:     hidden_group_size_y
      - .offset:         96
        .size:           2
        .value_kind:     hidden_group_size_z
      - .offset:         98
        .size:           2
        .value_kind:     hidden_remainder_x
      - .offset:         100
        .size:           2
        .value_kind:     hidden_remainder_y
      - .offset:         102
        .size:           2
        .value_kind:     hidden_remainder_z
      - .offset:         120
        .size:           8
        .value_kind:     hidden_global_offset_x
      - .offset:         128
        .size:           8
        .value_kind:     hidden_global_offset_y
      - .offset:         136
        .size:           8
        .value_kind:     hidden_global_offset_z
      - .offset:         144
        .size:           2
        .value_kind:     hidden_grid_dims
    .group_segment_fixed_size: 18432
    .kernarg_segment_align: 8
    .kernarg_segment_size: 336
    .language:       OpenCL C
    .language_version:
      - 2
      - 0
    .max_flat_workgroup_size: 256
    .name:           _ZN7rocprim17ROCPRIM_304000_NS6detail25onesweep_iteration_kernelINS1_34wrapped_radix_sort_onesweep_configINS0_14default_configEiN2at4cuda3cub6detail10OpaqueTypeILi2EEEEELb0EPKiPiPKSA_PSA_mNS0_19identity_decomposerEEEvT1_T2_T3_T4_jPT5_SO_PNS1_23onesweep_lookback_stateET6_jjj
    .private_segment_fixed_size: 0
    .sgpr_count:     95
    .sgpr_spill_count: 0
    .symbol:         _ZN7rocprim17ROCPRIM_304000_NS6detail25onesweep_iteration_kernelINS1_34wrapped_radix_sort_onesweep_configINS0_14default_configEiN2at4cuda3cub6detail10OpaqueTypeILi2EEEEELb0EPKiPiPKSA_PSA_mNS0_19identity_decomposerEEEvT1_T2_T3_T4_jPT5_SO_PNS1_23onesweep_lookback_stateET6_jjj.kd
    .uniform_work_group_size: 1
    .uses_dynamic_stack: false
    .vgpr_count:     79
    .vgpr_spill_count: 0
    .wavefront_size: 64
  - .agpr_count:     0
    .args:
      - .address_space:  global
        .offset:         0
        .size:           8
        .value_kind:     global_buffer
      - .address_space:  global
        .offset:         8
        .size:           8
        .value_kind:     global_buffer
      - .address_space:  global
        .offset:         16
        .size:           8
        .value_kind:     global_buffer
      - .address_space:  global
        .offset:         24
        .size:           8
        .value_kind:     global_buffer
      - .offset:         32
        .size:           4
        .value_kind:     by_value
      - .address_space:  global
        .offset:         40
        .size:           8
        .value_kind:     global_buffer
      - .address_space:  global
        .offset:         48
        .size:           8
        .value_kind:     global_buffer
      - .address_space:  global
        .offset:         56
        .size:           8
        .value_kind:     global_buffer
      - .offset:         64
        .size:           1
        .value_kind:     by_value
      - .offset:         68
        .size:           4
        .value_kind:     by_value
      - .offset:         72
        .size:           4
        .value_kind:     by_value
      - .offset:         76
        .size:           4
        .value_kind:     by_value
      - .offset:         80
        .size:           4
        .value_kind:     hidden_block_count_x
      - .offset:         84
        .size:           4
        .value_kind:     hidden_block_count_y
      - .offset:         88
        .size:           4
        .value_kind:     hidden_block_count_z
      - .offset:         92
        .size:           2
        .value_kind:     hidden_group_size_x
      - .offset:         94
        .size:           2
        .value_kind:     hidden_group_size_y
      - .offset:         96
        .size:           2
        .value_kind:     hidden_group_size_z
      - .offset:         98
        .size:           2
        .value_kind:     hidden_remainder_x
      - .offset:         100
        .size:           2
        .value_kind:     hidden_remainder_y
      - .offset:         102
        .size:           2
        .value_kind:     hidden_remainder_z
      - .offset:         120
        .size:           8
        .value_kind:     hidden_global_offset_x
      - .offset:         128
        .size:           8
        .value_kind:     hidden_global_offset_y
      - .offset:         136
        .size:           8
        .value_kind:     hidden_global_offset_z
      - .offset:         144
        .size:           2
        .value_kind:     hidden_grid_dims
    .group_segment_fixed_size: 18432
    .kernarg_segment_align: 8
    .kernarg_segment_size: 336
    .language:       OpenCL C
    .language_version:
      - 2
      - 0
    .max_flat_workgroup_size: 256
    .name:           _ZN7rocprim17ROCPRIM_304000_NS6detail25onesweep_iteration_kernelINS1_34wrapped_radix_sort_onesweep_configINS0_14default_configEiN2at4cuda3cub6detail10OpaqueTypeILi2EEEEELb0EPiSC_PSA_SD_mNS0_19identity_decomposerEEEvT1_T2_T3_T4_jPT5_SK_PNS1_23onesweep_lookback_stateET6_jjj
    .private_segment_fixed_size: 0
    .sgpr_count:     95
    .sgpr_spill_count: 0
    .symbol:         _ZN7rocprim17ROCPRIM_304000_NS6detail25onesweep_iteration_kernelINS1_34wrapped_radix_sort_onesweep_configINS0_14default_configEiN2at4cuda3cub6detail10OpaqueTypeILi2EEEEELb0EPiSC_PSA_SD_mNS0_19identity_decomposerEEEvT1_T2_T3_T4_jPT5_SK_PNS1_23onesweep_lookback_stateET6_jjj.kd
    .uniform_work_group_size: 1
    .uses_dynamic_stack: false
    .vgpr_count:     79
    .vgpr_spill_count: 0
    .wavefront_size: 64
amdhsa.target:   amdgcn-amd-amdhsa--gfx950
amdhsa.version:
  - 1
  - 2
...

	.end_amdgpu_metadata
